;; amdgpu-corpus repo=ROCm/rocFFT kind=compiled arch=gfx906 opt=O3
	.text
	.amdgcn_target "amdgcn-amd-amdhsa--gfx906"
	.amdhsa_code_object_version 6
	.protected	fft_rtc_back_len408_factors_17_3_8_wgs_51_tpt_17_halfLds_half_op_CI_CI_unitstride_sbrr_C2R_dirReg ; -- Begin function fft_rtc_back_len408_factors_17_3_8_wgs_51_tpt_17_halfLds_half_op_CI_CI_unitstride_sbrr_C2R_dirReg
	.globl	fft_rtc_back_len408_factors_17_3_8_wgs_51_tpt_17_halfLds_half_op_CI_CI_unitstride_sbrr_C2R_dirReg
	.p2align	8
	.type	fft_rtc_back_len408_factors_17_3_8_wgs_51_tpt_17_halfLds_half_op_CI_CI_unitstride_sbrr_C2R_dirReg,@function
fft_rtc_back_len408_factors_17_3_8_wgs_51_tpt_17_halfLds_half_op_CI_CI_unitstride_sbrr_C2R_dirReg: ; @fft_rtc_back_len408_factors_17_3_8_wgs_51_tpt_17_halfLds_half_op_CI_CI_unitstride_sbrr_C2R_dirReg
; %bb.0:
	s_load_dwordx4 s[8:11], s[4:5], 0x58
	s_load_dwordx4 s[12:15], s[4:5], 0x0
	;; [unrolled: 1-line block ×3, first 2 shown]
	v_mul_u32_u24_e32 v1, 0xf10, v0
	v_lshrrev_b32_e32 v1, 16, v1
	v_mad_u64_u32 v[3:4], s[0:1], s6, 3, v[1:2]
	v_mov_b32_e32 v9, 0
	v_mov_b32_e32 v4, v9
	s_waitcnt lgkmcnt(0)
	v_cmp_lt_u64_e64 s[0:1], s[14:15], 2
	v_mov_b32_e32 v7, 0
	v_mov_b32_e32 v8, 0
	;; [unrolled: 1-line block ×4, first 2 shown]
	s_and_b64 vcc, exec, s[0:1]
	v_mov_b32_e32 v2, v8
	v_mov_b32_e32 v5, v3
	s_cbranch_vccnz .LBB0_8
; %bb.1:
	s_load_dwordx2 s[0:1], s[4:5], 0x10
	s_add_u32 s2, s18, 8
	s_addc_u32 s3, s19, 0
	s_add_u32 s6, s16, 8
	s_addc_u32 s7, s17, 0
	v_mov_b32_e32 v7, 0
	s_waitcnt lgkmcnt(0)
	s_add_u32 s20, s0, 8
	v_mov_b32_e32 v8, 0
	v_mov_b32_e32 v1, v7
	;; [unrolled: 1-line block ×3, first 2 shown]
	s_addc_u32 s21, s1, 0
	s_mov_b64 s[22:23], 1
	v_mov_b32_e32 v2, v8
	v_mov_b32_e32 v11, v3
.LBB0_2:                                ; =>This Inner Loop Header: Depth=1
	s_load_dwordx2 s[24:25], s[20:21], 0x0
                                        ; implicit-def: $vgpr5_vgpr6
	s_waitcnt lgkmcnt(0)
	v_or_b32_e32 v10, s25, v12
	v_cmp_ne_u64_e32 vcc, 0, v[9:10]
	s_and_saveexec_b64 s[0:1], vcc
	s_xor_b64 s[26:27], exec, s[0:1]
	s_cbranch_execz .LBB0_4
; %bb.3:                                ;   in Loop: Header=BB0_2 Depth=1
	v_cvt_f32_u32_e32 v4, s24
	v_cvt_f32_u32_e32 v5, s25
	s_sub_u32 s0, 0, s24
	s_subb_u32 s1, 0, s25
	v_mac_f32_e32 v4, 0x4f800000, v5
	v_rcp_f32_e32 v4, v4
	v_mul_f32_e32 v4, 0x5f7ffffc, v4
	v_mul_f32_e32 v5, 0x2f800000, v4
	v_trunc_f32_e32 v5, v5
	v_mac_f32_e32 v4, 0xcf800000, v5
	v_cvt_u32_f32_e32 v5, v5
	v_cvt_u32_f32_e32 v4, v4
	v_mul_lo_u32 v6, s0, v5
	v_mul_hi_u32 v10, s0, v4
	v_mul_lo_u32 v14, s1, v4
	v_mul_lo_u32 v13, s0, v4
	v_add_u32_e32 v6, v10, v6
	v_add_u32_e32 v6, v6, v14
	v_mul_hi_u32 v10, v4, v13
	v_mul_lo_u32 v14, v4, v6
	v_mul_hi_u32 v16, v4, v6
	v_mul_hi_u32 v15, v5, v13
	v_mul_lo_u32 v13, v5, v13
	v_mul_hi_u32 v17, v5, v6
	v_add_co_u32_e32 v10, vcc, v10, v14
	v_addc_co_u32_e32 v14, vcc, 0, v16, vcc
	v_mul_lo_u32 v6, v5, v6
	v_add_co_u32_e32 v10, vcc, v10, v13
	v_addc_co_u32_e32 v10, vcc, v14, v15, vcc
	v_addc_co_u32_e32 v13, vcc, 0, v17, vcc
	v_add_co_u32_e32 v6, vcc, v10, v6
	v_addc_co_u32_e32 v10, vcc, 0, v13, vcc
	v_add_co_u32_e32 v4, vcc, v4, v6
	v_addc_co_u32_e32 v5, vcc, v5, v10, vcc
	v_mul_lo_u32 v6, s0, v5
	v_mul_hi_u32 v10, s0, v4
	v_mul_lo_u32 v13, s1, v4
	v_mul_lo_u32 v14, s0, v4
	v_add_u32_e32 v6, v10, v6
	v_add_u32_e32 v6, v6, v13
	v_mul_lo_u32 v15, v4, v6
	v_mul_hi_u32 v16, v4, v14
	v_mul_hi_u32 v17, v4, v6
	;; [unrolled: 1-line block ×3, first 2 shown]
	v_mul_lo_u32 v14, v5, v14
	v_mul_hi_u32 v10, v5, v6
	v_add_co_u32_e32 v15, vcc, v16, v15
	v_addc_co_u32_e32 v16, vcc, 0, v17, vcc
	v_mul_lo_u32 v6, v5, v6
	v_add_co_u32_e32 v14, vcc, v15, v14
	v_addc_co_u32_e32 v13, vcc, v16, v13, vcc
	v_addc_co_u32_e32 v10, vcc, 0, v10, vcc
	v_add_co_u32_e32 v6, vcc, v13, v6
	v_addc_co_u32_e32 v10, vcc, 0, v10, vcc
	v_add_co_u32_e32 v6, vcc, v4, v6
	v_addc_co_u32_e32 v10, vcc, v5, v10, vcc
	v_mad_u64_u32 v[4:5], s[0:1], v11, v10, 0
	v_mul_hi_u32 v13, v11, v6
	v_add_co_u32_e32 v15, vcc, v13, v4
	v_addc_co_u32_e32 v16, vcc, 0, v5, vcc
	v_mad_u64_u32 v[4:5], s[0:1], v12, v6, 0
	v_mad_u64_u32 v[13:14], s[0:1], v12, v10, 0
	v_add_co_u32_e32 v4, vcc, v15, v4
	v_addc_co_u32_e32 v4, vcc, v16, v5, vcc
	v_addc_co_u32_e32 v5, vcc, 0, v14, vcc
	v_add_co_u32_e32 v10, vcc, v4, v13
	v_addc_co_u32_e32 v6, vcc, 0, v5, vcc
	v_mul_lo_u32 v13, s25, v10
	v_mul_lo_u32 v14, s24, v6
	v_mad_u64_u32 v[4:5], s[0:1], s24, v10, 0
	v_add3_u32 v5, v5, v14, v13
	v_sub_u32_e32 v13, v12, v5
	v_mov_b32_e32 v14, s25
	v_sub_co_u32_e32 v4, vcc, v11, v4
	v_subb_co_u32_e64 v13, s[0:1], v13, v14, vcc
	v_subrev_co_u32_e64 v14, s[0:1], s24, v4
	v_subbrev_co_u32_e64 v13, s[0:1], 0, v13, s[0:1]
	v_cmp_le_u32_e64 s[0:1], s25, v13
	v_cndmask_b32_e64 v15, 0, -1, s[0:1]
	v_cmp_le_u32_e64 s[0:1], s24, v14
	v_cndmask_b32_e64 v14, 0, -1, s[0:1]
	v_cmp_eq_u32_e64 s[0:1], s25, v13
	v_cndmask_b32_e64 v13, v15, v14, s[0:1]
	v_add_co_u32_e64 v14, s[0:1], 2, v10
	v_addc_co_u32_e64 v15, s[0:1], 0, v6, s[0:1]
	v_add_co_u32_e64 v16, s[0:1], 1, v10
	v_addc_co_u32_e64 v17, s[0:1], 0, v6, s[0:1]
	v_subb_co_u32_e32 v5, vcc, v12, v5, vcc
	v_cmp_ne_u32_e64 s[0:1], 0, v13
	v_cmp_le_u32_e32 vcc, s25, v5
	v_cndmask_b32_e64 v13, v17, v15, s[0:1]
	v_cndmask_b32_e64 v15, 0, -1, vcc
	v_cmp_le_u32_e32 vcc, s24, v4
	v_cndmask_b32_e64 v4, 0, -1, vcc
	v_cmp_eq_u32_e32 vcc, s25, v5
	v_cndmask_b32_e32 v4, v15, v4, vcc
	v_cmp_ne_u32_e32 vcc, 0, v4
	v_cndmask_b32_e64 v4, v16, v14, s[0:1]
	v_cndmask_b32_e32 v6, v6, v13, vcc
	v_cndmask_b32_e32 v5, v10, v4, vcc
.LBB0_4:                                ;   in Loop: Header=BB0_2 Depth=1
	s_andn2_saveexec_b64 s[0:1], s[26:27]
	s_cbranch_execz .LBB0_6
; %bb.5:                                ;   in Loop: Header=BB0_2 Depth=1
	v_cvt_f32_u32_e32 v4, s24
	s_sub_i32 s26, 0, s24
	v_rcp_iflag_f32_e32 v4, v4
	v_mul_f32_e32 v4, 0x4f7ffffe, v4
	v_cvt_u32_f32_e32 v4, v4
	v_mul_lo_u32 v5, s26, v4
	v_mul_hi_u32 v5, v4, v5
	v_add_u32_e32 v4, v4, v5
	v_mul_hi_u32 v4, v11, v4
	v_mul_lo_u32 v5, v4, s24
	v_add_u32_e32 v6, 1, v4
	v_sub_u32_e32 v5, v11, v5
	v_subrev_u32_e32 v10, s24, v5
	v_cmp_le_u32_e32 vcc, s24, v5
	v_cndmask_b32_e32 v5, v5, v10, vcc
	v_cndmask_b32_e32 v4, v4, v6, vcc
	v_add_u32_e32 v6, 1, v4
	v_cmp_le_u32_e32 vcc, s24, v5
	v_cndmask_b32_e32 v5, v4, v6, vcc
	v_mov_b32_e32 v6, v9
.LBB0_6:                                ;   in Loop: Header=BB0_2 Depth=1
	s_or_b64 exec, exec, s[0:1]
	v_mul_lo_u32 v4, v6, s24
	v_mul_lo_u32 v10, v5, s25
	v_mad_u64_u32 v[13:14], s[0:1], v5, s24, 0
	s_load_dwordx2 s[0:1], s[6:7], 0x0
	s_load_dwordx2 s[24:25], s[2:3], 0x0
	v_add3_u32 v4, v14, v10, v4
	v_sub_co_u32_e32 v10, vcc, v11, v13
	v_subb_co_u32_e32 v4, vcc, v12, v4, vcc
	s_waitcnt lgkmcnt(0)
	v_mul_lo_u32 v11, s0, v4
	v_mul_lo_u32 v12, s1, v10
	v_mad_u64_u32 v[7:8], s[0:1], s0, v10, v[7:8]
	s_add_u32 s22, s22, 1
	s_addc_u32 s23, s23, 0
	s_add_u32 s2, s2, 8
	v_mul_lo_u32 v4, s24, v4
	v_mul_lo_u32 v13, s25, v10
	v_mad_u64_u32 v[1:2], s[0:1], s24, v10, v[1:2]
	v_add3_u32 v8, v12, v8, v11
	s_addc_u32 s3, s3, 0
	v_mov_b32_e32 v10, s14
	s_add_u32 s6, s6, 8
	v_mov_b32_e32 v11, s15
	s_addc_u32 s7, s7, 0
	v_cmp_ge_u64_e32 vcc, s[22:23], v[10:11]
	s_add_u32 s20, s20, 8
	v_add3_u32 v2, v13, v2, v4
	s_addc_u32 s21, s21, 0
	s_cbranch_vccnz .LBB0_8
; %bb.7:                                ;   in Loop: Header=BB0_2 Depth=1
	v_mov_b32_e32 v12, v6
	v_mov_b32_e32 v11, v5
	s_branch .LBB0_2
.LBB0_8:
	s_mov_b32 s2, 0xaaaaaaab
	s_load_dwordx2 s[0:1], s[4:5], 0x28
	v_mul_hi_u32 v4, v3, s2
	s_lshl_b64 s[6:7], s[14:15], 3
	s_add_u32 s2, s18, s6
	s_addc_u32 s3, s19, s7
	v_lshrrev_b32_e32 v4, 1, v4
	v_lshl_add_u32 v4, v4, 1, v4
	s_waitcnt lgkmcnt(0)
	v_cmp_gt_u64_e32 vcc, s[0:1], v[5:6]
	v_cmp_le_u64_e64 s[0:1], s[0:1], v[5:6]
	v_sub_u32_e32 v4, v3, v4
                                        ; implicit-def: $vgpr3
	s_and_saveexec_b64 s[4:5], s[0:1]
	s_xor_b64 s[0:1], exec, s[4:5]
; %bb.9:
	s_mov_b32 s4, 0xf0f0f10
	v_mul_hi_u32 v3, v0, s4
                                        ; implicit-def: $vgpr7_vgpr8
	v_mul_u32_u24_e32 v3, 17, v3
	v_sub_u32_e32 v3, v0, v3
                                        ; implicit-def: $vgpr0
; %bb.10:
	s_or_saveexec_b64 s[4:5], s[0:1]
	s_load_dwordx2 s[2:3], s[2:3], 0x0
	v_mul_u32_u24_e32 v4, 0x199, v4
	v_lshlrev_b32_e32 v40, 2, v4
	s_xor_b64 exec, exec, s[4:5]
	s_cbranch_execz .LBB0_14
; %bb.11:
	s_add_u32 s0, s16, s6
	s_addc_u32 s1, s17, s7
	s_load_dwordx2 s[0:1], s[0:1], 0x0
	s_mov_b32 s6, 0xf0f0f10
	v_mul_hi_u32 v3, v0, s6
	v_lshlrev_b64 v[7:8], 2, v[7:8]
	s_waitcnt lgkmcnt(0)
	v_mul_lo_u32 v11, s1, v5
	v_mul_lo_u32 v12, s0, v6
	v_mad_u64_u32 v[9:10], s[0:1], s0, v5, 0
	v_mul_u32_u24_e32 v3, 17, v3
	v_sub_u32_e32 v3, v0, v3
	v_add3_u32 v10, v10, v12, v11
	v_lshlrev_b64 v[9:10], 2, v[9:10]
	v_mov_b32_e32 v0, s9
	v_add_co_u32_e64 v9, s[0:1], s8, v9
	v_addc_co_u32_e64 v0, s[0:1], v0, v10, s[0:1]
	v_add_co_u32_e64 v7, s[0:1], v9, v7
	v_addc_co_u32_e64 v8, s[0:1], v0, v8, s[0:1]
	v_lshlrev_b32_e32 v0, 2, v3
	v_add_co_u32_e64 v9, s[0:1], v7, v0
	v_addc_co_u32_e64 v10, s[0:1], 0, v8, s[0:1]
	global_load_dword v11, v[9:10], off
	global_load_dword v12, v[9:10], off offset:68
	global_load_dword v13, v[9:10], off offset:136
	;; [unrolled: 1-line block ×23, first 2 shown]
	v_add3_u32 v0, 0, v40, v0
	v_cmp_eq_u32_e64 s[0:1], 16, v3
	v_add_u32_e32 v9, 0x400, v0
	s_waitcnt vmcnt(22)
	ds_write2_b32 v0, v11, v12 offset1:17
	s_waitcnt vmcnt(20)
	ds_write2_b32 v0, v13, v14 offset0:34 offset1:51
	s_waitcnt vmcnt(18)
	ds_write2_b32 v0, v15, v16 offset0:68 offset1:85
	;; [unrolled: 2-line block ×11, first 2 shown]
	s_and_saveexec_b64 s[6:7], s[0:1]
	s_cbranch_execz .LBB0_13
; %bb.12:
	global_load_dword v3, v[7:8], off offset:1632
	s_waitcnt vmcnt(0)
	ds_write_b32 v0, v3 offset:1568
	v_mov_b32_e32 v3, 16
.LBB0_13:
	s_or_b64 exec, exec, s[6:7]
.LBB0_14:
	s_or_b64 exec, exec, s[4:5]
	v_lshl_add_u32 v0, v4, 2, 0
	v_lshlrev_b32_e32 v4, 2, v3
	v_add_u32_e32 v39, v0, v4
	s_waitcnt lgkmcnt(0)
	; wave barrier
	s_waitcnt lgkmcnt(0)
	v_sub_u32_e32 v9, v0, v4
	ds_read_u16 v12, v39
	ds_read_u16 v13, v9 offset:1632
	v_cmp_ne_u32_e64 s[0:1], 0, v3
                                        ; implicit-def: $vgpr7_vgpr8
	s_waitcnt lgkmcnt(0)
	v_add_f16_e32 v10, v13, v12
	v_sub_f16_e32 v11, v12, v13
	s_and_saveexec_b64 s[4:5], s[0:1]
	s_xor_b64 s[4:5], exec, s[4:5]
	s_cbranch_execz .LBB0_16
; %bb.15:
	v_mov_b32_e32 v4, 0
	v_lshlrev_b64 v[7:8], 2, v[3:4]
	v_mov_b32_e32 v10, s13
	v_add_co_u32_e64 v7, s[0:1], s12, v7
	v_addc_co_u32_e64 v8, s[0:1], v10, v8, s[0:1]
	global_load_dword v7, v[7:8], off offset:1564
	ds_read_u16 v8, v9 offset:1634
	ds_read_u16 v10, v39 offset:2
	v_add_f16_e32 v11, v13, v12
	v_sub_f16_e32 v12, v12, v13
	s_waitcnt lgkmcnt(0)
	v_add_f16_e32 v13, v8, v10
	v_sub_f16_e32 v8, v10, v8
	s_waitcnt vmcnt(0)
	v_lshrrev_b32_e32 v10, 16, v7
	v_fma_f16 v14, v12, v10, v11
	v_fma_f16 v15, v13, v10, v8
	v_fma_f16 v16, -v12, v10, v11
	v_fma_f16 v8, v13, v10, -v8
	v_fma_f16 v10, -v7, v13, v14
	v_fma_f16 v11, v12, v7, v15
	v_fma_f16 v13, v7, v13, v16
	;; [unrolled: 1-line block ×3, first 2 shown]
	v_pack_b32_f16 v7, v13, v7
	ds_write_b32 v9, v7 offset:1632
	v_mov_b32_e32 v8, v4
	v_mov_b32_e32 v7, v3
.LBB0_16:
	s_andn2_saveexec_b64 s[0:1], s[4:5]
	s_cbranch_execz .LBB0_18
; %bb.17:
	ds_read_b32 v4, v0 offset:816
	s_mov_b32 s4, 0xc0004000
	v_mov_b32_e32 v7, 0
	v_mov_b32_e32 v8, 0
	s_waitcnt lgkmcnt(0)
	v_pk_mul_f16 v4, v4, s4
	ds_write_b32 v0, v4 offset:816
.LBB0_18:
	s_or_b64 exec, exec, s[0:1]
	s_add_u32 s0, s12, 0x61c
	v_lshlrev_b64 v[7:8], 2, v[7:8]
	s_addc_u32 s1, s13, 0
	v_mov_b32_e32 v4, s1
	v_add_co_u32_e64 v7, s[0:1], s0, v7
	v_addc_co_u32_e64 v8, s[0:1], v4, v8, s[0:1]
	global_load_dword v4, v[7:8], off offset:68
	global_load_dword v12, v[7:8], off offset:136
	;; [unrolled: 1-line block ×4, first 2 shown]
	s_mov_b32 s0, 0x5040100
	v_perm_b32 v10, v11, v10, s0
	ds_write_b32 v39, v10
	ds_read_b32 v10, v39 offset:68
	ds_read_b32 v11, v9 offset:1564
	global_load_dword v15, v[7:8], off offset:340
	global_load_dword v16, v[7:8], off offset:408
	;; [unrolled: 1-line block ×4, first 2 shown]
	s_mov_b32 s24, 0xb5c8
	s_movk_i32 s15, 0x3b76
	s_mov_b32 s6, 0xffff
	s_waitcnt lgkmcnt(0)
	v_add_f16_e32 v19, v10, v11
	v_add_f16_sdwa v20, v11, v10 dst_sel:DWORD dst_unused:UNUSED_PAD src0_sel:WORD_1 src1_sel:WORD_1
	v_sub_f16_e32 v21, v10, v11
	v_sub_f16_sdwa v10, v10, v11 dst_sel:DWORD dst_unused:UNUSED_PAD src0_sel:WORD_1 src1_sel:WORD_1
	s_mov_b32 s23, 0xb964
	s_movk_i32 s16, 0x39e9
	s_mov_b32 s28, 0xbb29
	s_movk_i32 s7, 0x3964
	s_movk_i32 s17, 0x3722
	s_mov_b32 s26, 0xbbf7
	s_movk_i32 s8, 0x3b29
	;; [unrolled: 3-line block ×3, first 2 shown]
	s_mov_b32 s20, 0xb461
	s_mov_b32 s19, 0xba62
	s_movk_i32 s27, 0x3bb2
	s_mov_b32 s22, 0xb8d2
	s_mov_b32 s21, 0xb836
	s_movk_i32 s31, 0x3a62
	s_mov_b32 s25, 0xbacd
	s_movk_i32 s29, 0x3836
	s_mov_b32 s30, 0xb1e1
	s_mov_b32 s33, 0xbbdd
	s_movk_i32 s34, 0x31e1
	s_movk_i32 s35, 0x35c8
	v_mul_u32_u24_e32 v43, 0x44, v3
	v_add3_u32 v43, 0, v43, v40
	s_waitcnt vmcnt(7)
	v_lshrrev_b32_e32 v11, 16, v4
	v_fma_f16 v22, v21, v11, v19
	v_fma_f16 v23, v20, v11, v10
	v_fma_f16 v19, -v21, v11, v19
	v_fma_f16 v10, v20, v11, -v10
	v_fma_f16 v11, -v4, v20, v22
	v_fma_f16 v22, v21, v4, v23
	v_fma_f16 v19, v4, v20, v19
	v_fma_f16 v4, v21, v4, v10
	v_pack_b32_f16 v10, v11, v22
	v_pack_b32_f16 v4, v19, v4
	ds_write_b32 v39, v10 offset:68
	ds_write_b32 v9, v4 offset:1564
	ds_read_b32 v4, v39 offset:136
	ds_read_b32 v10, v9 offset:1496
	s_waitcnt vmcnt(6)
	v_lshrrev_b32_e32 v11, 16, v12
	s_waitcnt lgkmcnt(0)
	v_add_f16_e32 v19, v4, v10
	v_add_f16_sdwa v20, v10, v4 dst_sel:DWORD dst_unused:UNUSED_PAD src0_sel:WORD_1 src1_sel:WORD_1
	v_sub_f16_e32 v21, v4, v10
	v_sub_f16_sdwa v4, v4, v10 dst_sel:DWORD dst_unused:UNUSED_PAD src0_sel:WORD_1 src1_sel:WORD_1
	v_fma_f16 v10, v21, v11, v19
	v_fma_f16 v22, v20, v11, v4
	v_fma_f16 v19, -v21, v11, v19
	v_fma_f16 v4, v20, v11, -v4
	v_fma_f16 v10, -v12, v20, v10
	v_fma_f16 v11, v21, v12, v22
	v_fma_f16 v19, v12, v20, v19
	v_fma_f16 v4, v21, v12, v4
	v_pack_b32_f16 v10, v10, v11
	v_pack_b32_f16 v4, v19, v4
	ds_write_b32 v39, v10 offset:136
	ds_write_b32 v9, v4 offset:1496
	ds_read_b32 v4, v39 offset:204
	ds_read_b32 v10, v9 offset:1428
	s_waitcnt vmcnt(5)
	v_lshrrev_b32_e32 v11, 16, v13
	s_waitcnt lgkmcnt(0)
	v_add_f16_e32 v12, v4, v10
	v_add_f16_sdwa v19, v10, v4 dst_sel:DWORD dst_unused:UNUSED_PAD src0_sel:WORD_1 src1_sel:WORD_1
	v_sub_f16_e32 v20, v4, v10
	v_sub_f16_sdwa v4, v4, v10 dst_sel:DWORD dst_unused:UNUSED_PAD src0_sel:WORD_1 src1_sel:WORD_1
	;; [unrolled: 21-line block ×3, first 2 shown]
	v_fma_f16 v10, v19, v11, v12
	v_fma_f16 v20, v13, v11, v4
	v_fma_f16 v12, -v19, v11, v12
	v_fma_f16 v4, v13, v11, -v4
	v_fma_f16 v10, -v14, v13, v10
	v_fma_f16 v11, v19, v14, v20
	v_fma_f16 v12, v14, v13, v12
	;; [unrolled: 1-line block ×3, first 2 shown]
	v_pack_b32_f16 v10, v10, v11
	v_pack_b32_f16 v4, v12, v4
	ds_write_b32 v39, v10 offset:272
	ds_write_b32 v9, v4 offset:1360
	ds_read_b32 v4, v39 offset:340
	ds_read_b32 v10, v9 offset:1292
	s_waitcnt vmcnt(3)
	v_lshrrev_b32_e32 v12, 16, v15
	global_load_dword v11, v[7:8], off offset:612
	s_waitcnt lgkmcnt(0)
	v_add_f16_e32 v13, v4, v10
	v_add_f16_sdwa v14, v10, v4 dst_sel:DWORD dst_unused:UNUSED_PAD src0_sel:WORD_1 src1_sel:WORD_1
	v_sub_f16_e32 v19, v4, v10
	v_sub_f16_sdwa v4, v4, v10 dst_sel:DWORD dst_unused:UNUSED_PAD src0_sel:WORD_1 src1_sel:WORD_1
	v_fma_f16 v10, v19, v12, v13
	v_fma_f16 v20, v14, v12, v4
	v_fma_f16 v13, -v19, v12, v13
	v_fma_f16 v4, v14, v12, -v4
	v_fma_f16 v10, -v15, v14, v10
	v_fma_f16 v12, v19, v15, v20
	v_fma_f16 v13, v15, v14, v13
	v_fma_f16 v4, v19, v15, v4
	v_pack_b32_f16 v10, v10, v12
	v_pack_b32_f16 v4, v13, v4
	ds_write_b32 v39, v10 offset:340
	ds_write_b32 v9, v4 offset:1292
	ds_read_b32 v4, v39 offset:408
	ds_read_b32 v10, v9 offset:1224
	s_waitcnt vmcnt(3)
	v_lshrrev_b32_e32 v13, 16, v16
	global_load_dword v12, v[7:8], off offset:680
	s_waitcnt lgkmcnt(0)
	v_add_f16_e32 v14, v4, v10
	v_add_f16_sdwa v15, v10, v4 dst_sel:DWORD dst_unused:UNUSED_PAD src0_sel:WORD_1 src1_sel:WORD_1
	v_sub_f16_e32 v19, v4, v10
	v_sub_f16_sdwa v4, v4, v10 dst_sel:DWORD dst_unused:UNUSED_PAD src0_sel:WORD_1 src1_sel:WORD_1
	v_fma_f16 v10, v19, v13, v14
	v_fma_f16 v20, v15, v13, v4
	v_fma_f16 v14, -v19, v13, v14
	v_fma_f16 v4, v15, v13, -v4
	v_fma_f16 v10, -v16, v15, v10
	v_fma_f16 v13, v19, v16, v20
	v_fma_f16 v14, v16, v15, v14
	;; [unrolled: 1-line block ×3, first 2 shown]
	v_pack_b32_f16 v10, v10, v13
	v_pack_b32_f16 v4, v14, v4
	ds_write_b32 v39, v10 offset:408
	ds_write_b32 v9, v4 offset:1224
	ds_read_b32 v4, v39 offset:476
	ds_read_b32 v10, v9 offset:1156
	s_waitcnt vmcnt(3)
	v_lshrrev_b32_e32 v13, 16, v17
	s_waitcnt lgkmcnt(0)
	v_add_f16_e32 v14, v4, v10
	v_add_f16_sdwa v15, v10, v4 dst_sel:DWORD dst_unused:UNUSED_PAD src0_sel:WORD_1 src1_sel:WORD_1
	v_sub_f16_e32 v16, v4, v10
	v_sub_f16_sdwa v4, v4, v10 dst_sel:DWORD dst_unused:UNUSED_PAD src0_sel:WORD_1 src1_sel:WORD_1
	v_fma_f16 v10, v16, v13, v14
	v_fma_f16 v19, v15, v13, v4
	v_fma_f16 v10, -v17, v15, v10
	v_fma_f16 v19, v16, v17, v19
	v_fma_f16 v14, -v16, v13, v14
	v_pack_b32_f16 v10, v10, v19
	v_fma_f16 v4, v15, v13, -v4
	ds_write_b32 v39, v10 offset:476
	v_fma_f16 v10, v17, v15, v14
	v_fma_f16 v4, v16, v17, v4
	v_pack_b32_f16 v4, v10, v4
	ds_write_b32 v9, v4 offset:1156
	ds_read_b32 v4, v39 offset:544
	ds_read_b32 v10, v9 offset:1088
	global_load_dword v7, v[7:8], off offset:748
	s_waitcnt lgkmcnt(0)
	v_add_f16_e32 v8, v4, v10
	v_add_f16_sdwa v13, v10, v4 dst_sel:DWORD dst_unused:UNUSED_PAD src0_sel:WORD_1 src1_sel:WORD_1
	v_sub_f16_e32 v14, v4, v10
	v_sub_f16_sdwa v4, v4, v10 dst_sel:DWORD dst_unused:UNUSED_PAD src0_sel:WORD_1 src1_sel:WORD_1
	s_waitcnt vmcnt(3)
	v_lshrrev_b32_e32 v10, 16, v18
	v_fma_f16 v15, v14, v10, v8
	v_fma_f16 v16, v13, v10, v4
	v_fma_f16 v8, -v14, v10, v8
	v_fma_f16 v4, v13, v10, -v4
	v_fma_f16 v15, -v18, v13, v15
	v_fma_f16 v16, v14, v18, v16
	v_fma_f16 v8, v18, v13, v8
	;; [unrolled: 1-line block ×3, first 2 shown]
	v_pack_b32_f16 v15, v15, v16
	v_pack_b32_f16 v4, v8, v4
	ds_write_b32 v39, v15 offset:544
	ds_write_b32 v9, v4 offset:1088
	v_xor_b32_e32 v4, 0xff, v3
	v_lshl_add_u32 v4, v4, 2, v0
	ds_read_b32 v8, v39 offset:612
	ds_read_b32 v10, v4
	s_waitcnt lgkmcnt(0)
	v_add_f16_e32 v13, v8, v10
	v_add_f16_sdwa v14, v10, v8 dst_sel:DWORD dst_unused:UNUSED_PAD src0_sel:WORD_1 src1_sel:WORD_1
	v_sub_f16_e32 v15, v8, v10
	v_sub_f16_sdwa v8, v8, v10 dst_sel:DWORD dst_unused:UNUSED_PAD src0_sel:WORD_1 src1_sel:WORD_1
	s_waitcnt vmcnt(2)
	v_lshrrev_b32_e32 v10, 16, v11
	v_fma_f16 v16, v15, v10, v13
	v_fma_f16 v17, v14, v10, v8
	v_fma_f16 v13, -v15, v10, v13
	v_fma_f16 v8, v14, v10, -v8
	v_fma_f16 v16, -v11, v14, v16
	v_fma_f16 v17, v15, v11, v17
	v_fma_f16 v13, v11, v14, v13
	;; [unrolled: 1-line block ×3, first 2 shown]
	v_pack_b32_f16 v16, v16, v17
	v_pack_b32_f16 v8, v13, v8
	ds_write_b32 v39, v16 offset:612
	ds_write_b32 v4, v8
	ds_read_b32 v4, v39 offset:680
	ds_read_b32 v8, v9 offset:952
	s_waitcnt lgkmcnt(0)
	v_add_f16_e32 v10, v4, v8
	v_add_f16_sdwa v11, v8, v4 dst_sel:DWORD dst_unused:UNUSED_PAD src0_sel:WORD_1 src1_sel:WORD_1
	v_sub_f16_e32 v13, v4, v8
	v_sub_f16_sdwa v4, v4, v8 dst_sel:DWORD dst_unused:UNUSED_PAD src0_sel:WORD_1 src1_sel:WORD_1
	s_waitcnt vmcnt(1)
	v_lshrrev_b32_e32 v8, 16, v12
	v_fma_f16 v14, v13, v8, v10
	v_fma_f16 v15, v11, v8, v4
	v_fma_f16 v10, -v13, v8, v10
	v_fma_f16 v4, v11, v8, -v4
	v_fma_f16 v14, -v12, v11, v14
	v_fma_f16 v15, v13, v12, v15
	v_fma_f16 v10, v12, v11, v10
	;; [unrolled: 1-line block ×3, first 2 shown]
	v_pack_b32_f16 v14, v14, v15
	v_pack_b32_f16 v4, v10, v4
	ds_write_b32 v39, v14 offset:680
	ds_write_b32 v9, v4 offset:952
	ds_read_b32 v4, v39 offset:748
	ds_read_b32 v8, v9 offset:884
	s_waitcnt lgkmcnt(0)
	v_add_f16_e32 v10, v4, v8
	v_add_f16_sdwa v11, v8, v4 dst_sel:DWORD dst_unused:UNUSED_PAD src0_sel:WORD_1 src1_sel:WORD_1
	v_sub_f16_e32 v12, v4, v8
	v_sub_f16_sdwa v4, v4, v8 dst_sel:DWORD dst_unused:UNUSED_PAD src0_sel:WORD_1 src1_sel:WORD_1
	s_waitcnt vmcnt(0)
	v_lshrrev_b32_e32 v8, 16, v7
	v_fma_f16 v13, v12, v8, v10
	v_fma_f16 v14, v11, v8, v4
	v_fma_f16 v10, -v12, v8, v10
	v_fma_f16 v4, v11, v8, -v4
	v_fma_f16 v13, -v7, v11, v13
	v_fma_f16 v14, v12, v7, v14
	v_fma_f16 v10, v7, v11, v10
	;; [unrolled: 1-line block ×3, first 2 shown]
	v_pack_b32_f16 v13, v13, v14
	v_pack_b32_f16 v4, v10, v4
	ds_write_b32 v39, v13 offset:748
	ds_write_b32 v9, v4 offset:884
	v_lshl_add_u32 v4, v3, 2, 0
	v_add_u32_e32 v4, v4, v40
	v_add_u32_e32 v41, 0x400, v4
	s_waitcnt lgkmcnt(0)
	; wave barrier
	s_waitcnt lgkmcnt(0)
	s_waitcnt lgkmcnt(0)
	; wave barrier
	s_waitcnt lgkmcnt(0)
	ds_read2_b32 v[7:8], v4 offset0:17 offset1:24
	ds_read2_b32 v[25:26], v4 offset0:41 offset1:48
	;; [unrolled: 1-line block ×14, first 2 shown]
	ds_read_b32 v42, v4 offset:1604
	ds_read_b32 v44, v39
	ds_read2_b32 v[35:36], v41 offset0:97 offset1:104
	ds_read2_b32 v[37:38], v41 offset0:121 offset1:128
	s_waitcnt lgkmcnt(0)
	; wave barrier
	s_waitcnt lgkmcnt(0)
	v_pk_add_f16 v45, v44, v8
	v_pk_add_f16 v45, v45, v26
	v_pk_add_f16 v45, v45, v24
	v_pk_add_f16 v45, v45, v22
	v_pk_add_f16 v45, v45, v20
	v_pk_add_f16 v45, v45, v18
	v_pk_add_f16 v45, v45, v16
	v_pk_add_f16 v45, v45, v12
	v_pk_add_f16 v45, v45, v10
	v_pk_add_f16 v45, v45, v14
	v_pk_add_f16 v45, v45, v28
	v_pk_add_f16 v45, v45, v30
	v_pk_add_f16 v45, v45, v32
	v_pk_add_f16 v45, v45, v34
	v_pk_add_f16 v45, v45, v36
	v_pk_add_f16 v51, v45, v38
	v_pk_add_f16 v45, v8, v38 neg_lo:[0,1] neg_hi:[0,1]
	v_pk_add_f16 v46, v38, v8
	v_pk_mul_f16 v38, v45, s24 op_sel_hi:[1,0]
	v_pk_fma_f16 v8, v46, s15, v38 op_sel:[0,0,1] op_sel_hi:[1,0,0]
	v_pk_fma_f16 v38, v46, s15, v38 op_sel:[0,0,1] op_sel_hi:[1,0,0] neg_lo:[0,0,1] neg_hi:[0,0,1]
	v_bfi_b32 v47, s6, v8, v38
	v_pk_add_f16 v49, v44, v47
	v_mul_f16_sdwa v47, v45, s23 dst_sel:DWORD dst_unused:UNUSED_PAD src0_sel:WORD_1 src1_sel:DWORD
	v_fma_f16 v48, v46, s16, v47
	v_add_f16_e32 v50, v44, v48
	v_mul_f16_sdwa v48, v46, s16 dst_sel:DWORD dst_unused:UNUSED_PAD src0_sel:WORD_1 src1_sel:DWORD
	v_fma_f16 v47, v46, s16, -v47
	v_add_f16_e32 v53, v44, v47
	v_fma_f16 v47, v45, s23, v48
	v_add_f16_sdwa v54, v44, v47 dst_sel:DWORD dst_unused:UNUSED_PAD src0_sel:WORD_1 src1_sel:DWORD
	v_mul_f16_sdwa v47, v45, s28 dst_sel:DWORD dst_unused:UNUSED_PAD src0_sel:WORD_1 src1_sel:DWORD
	v_fma_f16 v52, v45, s7, v48
	v_fma_f16 v48, v46, s17, v47
	v_add_f16_e32 v55, v44, v48
	v_mul_f16_sdwa v48, v46, s17 dst_sel:DWORD dst_unused:UNUSED_PAD src0_sel:WORD_1 src1_sel:DWORD
	v_fma_f16 v47, v46, s17, -v47
	v_add_f16_e32 v57, v44, v47
	v_fma_f16 v47, v45, s28, v48
	v_add_f16_sdwa v58, v44, v47 dst_sel:DWORD dst_unused:UNUSED_PAD src0_sel:WORD_1 src1_sel:DWORD
	v_mul_f16_sdwa v47, v45, s26 dst_sel:DWORD dst_unused:UNUSED_PAD src0_sel:WORD_1 src1_sel:DWORD
	v_fma_f16 v56, v45, s8, v48
	;; [unrolled: 9-line block ×5, first 2 shown]
	v_fma_f16 v48, v46, s25, v47
	v_add_f16_e32 v71, v44, v48
	v_mul_f16_sdwa v48, v46, s25 dst_sel:DWORD dst_unused:UNUSED_PAD src0_sel:WORD_1 src1_sel:DWORD
	v_fma_f16 v47, v46, s25, -v47
	v_add_f16_e32 v73, v44, v47
	v_fma_f16 v47, v45, s21, v48
	v_add_f16_sdwa v74, v44, v47 dst_sel:DWORD dst_unused:UNUSED_PAD src0_sel:WORD_1 src1_sel:DWORD
	v_pk_add_f16 v47, v26, v36 neg_lo:[0,1] neg_hi:[0,1]
	v_fma_f16 v72, v45, s29, v48
	v_pk_add_f16 v48, v36, v26
	v_pk_mul_f16 v36, v47, s23 op_sel_hi:[1,0]
	v_pk_fma_f16 v26, v48, s16, v36 op_sel:[0,0,1] op_sel_hi:[1,0,0]
	v_pk_fma_f16 v36, v48, s16, v36 op_sel:[0,0,1] op_sel_hi:[1,0,0] neg_lo:[0,0,1] neg_hi:[0,0,1]
	v_bfi_b32 v75, s6, v26, v36
	v_pk_add_f16 v75, v75, v49
	v_mul_f16_sdwa v49, v47, s26 dst_sel:DWORD dst_unused:UNUSED_PAD src0_sel:WORD_1 src1_sel:DWORD
	v_fma_f16 v76, v48, s18, v49
	v_add_f16_e32 v76, v76, v50
	v_mul_f16_sdwa v50, v48, s18 dst_sel:DWORD dst_unused:UNUSED_PAD src0_sel:WORD_1 src1_sel:DWORD
	v_fma_f16 v49, v48, s18, -v49
	v_add_f16_e32 v53, v49, v53
	v_fma_f16 v49, v47, s26, v50
	v_add_f16_e32 v54, v49, v54
	v_mul_f16_sdwa v49, v47, s19 dst_sel:DWORD dst_unused:UNUSED_PAD src0_sel:WORD_1 src1_sel:DWORD
	v_fma_f16 v77, v47, s9, v50
	v_fma_f16 v50, v48, s22, v49
	v_add_f16_e32 v55, v50, v55
	v_mul_f16_sdwa v50, v48, s22 dst_sel:DWORD dst_unused:UNUSED_PAD src0_sel:WORD_1 src1_sel:DWORD
	v_fma_f16 v49, v48, s22, -v49
	v_add_f16_e32 v57, v49, v57
	v_fma_f16 v49, v47, s19, v50
	v_add_f16_sdwa v52, v44, v52 dst_sel:DWORD dst_unused:UNUSED_PAD src0_sel:WORD_1 src1_sel:DWORD
	v_add_f16_e32 v58, v49, v58
	v_mul_f16_sdwa v49, v47, s30 dst_sel:DWORD dst_unused:UNUSED_PAD src0_sel:WORD_1 src1_sel:DWORD
	v_add_f16_e32 v52, v77, v52
	v_fma_f16 v77, v47, s31, v50
	v_fma_f16 v50, v48, s33, v49
	v_add_f16_e32 v59, v50, v59
	v_mul_f16_sdwa v50, v48, s33 dst_sel:DWORD dst_unused:UNUSED_PAD src0_sel:WORD_1 src1_sel:DWORD
	v_fma_f16 v49, v48, s33, -v49
	v_add_f16_e32 v61, v49, v61
	v_fma_f16 v49, v47, s30, v50
	v_add_f16_sdwa v56, v44, v56 dst_sel:DWORD dst_unused:UNUSED_PAD src0_sel:WORD_1 src1_sel:DWORD
	v_add_f16_e32 v62, v49, v62
	v_mul_f16_sdwa v49, v47, s29 dst_sel:DWORD dst_unused:UNUSED_PAD src0_sel:WORD_1 src1_sel:DWORD
	v_add_f16_e32 v56, v77, v56
	v_fma_f16 v77, v47, s34, v50
	v_fma_f16 v50, v48, s25, v49
	v_add_f16_e32 v63, v50, v63
	v_mul_f16_sdwa v50, v48, s25 dst_sel:DWORD dst_unused:UNUSED_PAD src0_sel:WORD_1 src1_sel:DWORD
	v_fma_f16 v49, v48, s25, -v49
	v_add_f16_e32 v65, v49, v65
	v_fma_f16 v49, v47, s29, v50
	v_add_f16_sdwa v60, v44, v60 dst_sel:DWORD dst_unused:UNUSED_PAD src0_sel:WORD_1 src1_sel:DWORD
	v_add_f16_e32 v66, v49, v66
	v_mul_f16_sdwa v49, v47, s27 dst_sel:DWORD dst_unused:UNUSED_PAD src0_sel:WORD_1 src1_sel:DWORD
	v_add_f16_e32 v60, v77, v60
	v_fma_f16 v77, v47, s21, v50
	v_fma_f16 v50, v48, s20, v49
	v_add_f16_e32 v67, v50, v67
	v_mul_f16_sdwa v50, v48, s20 dst_sel:DWORD dst_unused:UNUSED_PAD src0_sel:WORD_1 src1_sel:DWORD
	v_fma_f16 v49, v48, s20, -v49
	v_add_f16_e32 v69, v49, v69
	v_fma_f16 v49, v47, s27, v50
	v_add_f16_sdwa v64, v44, v64 dst_sel:DWORD dst_unused:UNUSED_PAD src0_sel:WORD_1 src1_sel:DWORD
	v_add_f16_e32 v70, v49, v70
	v_mul_f16_sdwa v49, v47, s8 dst_sel:DWORD dst_unused:UNUSED_PAD src0_sel:WORD_1 src1_sel:DWORD
	v_add_f16_e32 v64, v77, v64
	v_fma_f16 v77, v47, s14, v50
	v_fma_f16 v50, v48, s17, v49
	v_add_f16_e32 v71, v50, v71
	v_mul_f16_sdwa v50, v48, s17 dst_sel:DWORD dst_unused:UNUSED_PAD src0_sel:WORD_1 src1_sel:DWORD
	v_fma_f16 v49, v48, s17, -v49
	v_add_f16_e32 v73, v49, v73
	v_fma_f16 v49, v47, s8, v50
	v_add_f16_sdwa v68, v44, v68 dst_sel:DWORD dst_unused:UNUSED_PAD src0_sel:WORD_1 src1_sel:DWORD
	v_add_f16_e32 v74, v49, v74
	v_pk_add_f16 v49, v24, v34 neg_lo:[0,1] neg_hi:[0,1]
	v_add_f16_e32 v68, v77, v68
	v_fma_f16 v77, v47, s28, v50
	v_pk_add_f16 v50, v34, v24
	v_pk_mul_f16 v34, v49, s28 op_sel_hi:[1,0]
	v_add_f16_sdwa v72, v44, v72 dst_sel:DWORD dst_unused:UNUSED_PAD src0_sel:WORD_1 src1_sel:DWORD
	v_pk_fma_f16 v24, v50, s17, v34 op_sel:[0,0,1] op_sel_hi:[1,0,0]
	v_pk_fma_f16 v34, v50, s17, v34 op_sel:[0,0,1] op_sel_hi:[1,0,0] neg_lo:[0,0,1] neg_hi:[0,0,1]
	v_add_f16_e32 v72, v77, v72
	v_bfi_b32 v77, s6, v24, v34
	v_pk_add_f16 v75, v77, v75
	v_mul_f16_sdwa v77, v49, s19 dst_sel:DWORD dst_unused:UNUSED_PAD src0_sel:WORD_1 src1_sel:DWORD
	v_fma_f16 v78, v50, s22, v77
	v_add_f16_e32 v76, v78, v76
	v_mul_f16_sdwa v78, v50, s22 dst_sel:DWORD dst_unused:UNUSED_PAD src0_sel:WORD_1 src1_sel:DWORD
	v_fma_f16 v79, v49, s31, v78
	v_add_f16_e32 v79, v79, v52
	v_fma_f16 v52, v50, s22, -v77
	v_add_f16_e32 v77, v52, v53
	v_fma_f16 v52, v49, s19, v78
	v_add_f16_e32 v54, v52, v54
	v_mul_f16_sdwa v52, v49, s34 dst_sel:DWORD dst_unused:UNUSED_PAD src0_sel:WORD_1 src1_sel:DWORD
	v_fma_f16 v53, v50, s33, v52
	v_add_f16_e32 v55, v53, v55
	v_mul_f16_sdwa v53, v50, s33 dst_sel:DWORD dst_unused:UNUSED_PAD src0_sel:WORD_1 src1_sel:DWORD
	v_fma_f16 v52, v50, s33, -v52
	v_add_f16_e32 v57, v52, v57
	v_fma_f16 v52, v49, s34, v53
	v_add_f16_e32 v58, v52, v58
	v_mul_f16_sdwa v52, v49, s27 dst_sel:DWORD dst_unused:UNUSED_PAD src0_sel:WORD_1 src1_sel:DWORD
	v_fma_f16 v78, v49, s30, v53
	v_fma_f16 v53, v50, s20, v52
	v_add_f16_e32 v59, v53, v59
	v_mul_f16_sdwa v53, v50, s20 dst_sel:DWORD dst_unused:UNUSED_PAD src0_sel:WORD_1 src1_sel:DWORD
	v_fma_f16 v52, v50, s20, -v52
	v_add_f16_e32 v61, v52, v61
	v_fma_f16 v52, v49, s27, v53
	v_add_f16_e32 v62, v52, v62
	v_mul_f16_sdwa v52, v49, s7 dst_sel:DWORD dst_unused:UNUSED_PAD src0_sel:WORD_1 src1_sel:DWORD
	v_add_f16_e32 v56, v78, v56
	v_fma_f16 v78, v49, s14, v53
	v_fma_f16 v53, v50, s16, v52
	v_add_f16_e32 v63, v53, v63
	v_mul_f16_sdwa v53, v50, s16 dst_sel:DWORD dst_unused:UNUSED_PAD src0_sel:WORD_1 src1_sel:DWORD
	v_fma_f16 v52, v50, s16, -v52
	v_add_f16_e32 v65, v52, v65
	v_fma_f16 v52, v49, s7, v53
	v_add_f16_e32 v66, v52, v66
	v_mul_f16_sdwa v52, v49, s24 dst_sel:DWORD dst_unused:UNUSED_PAD src0_sel:WORD_1 src1_sel:DWORD
	v_add_f16_e32 v60, v78, v60
	;; [unrolled: 10-line block ×3, first 2 shown]
	v_fma_f16 v78, v49, s35, v53
	v_fma_f16 v53, v50, s18, v52
	v_add_f16_e32 v71, v53, v71
	v_mul_f16_sdwa v53, v50, s18 dst_sel:DWORD dst_unused:UNUSED_PAD src0_sel:WORD_1 src1_sel:DWORD
	v_fma_f16 v52, v50, s18, -v52
	v_add_f16_e32 v73, v52, v73
	v_fma_f16 v52, v49, s26, v53
	v_add_f16_e32 v74, v52, v74
	v_pk_add_f16 v52, v22, v32 neg_lo:[0,1] neg_hi:[0,1]
	v_add_f16_e32 v68, v78, v68
	v_fma_f16 v78, v49, s9, v53
	v_pk_add_f16 v53, v32, v22
	v_pk_mul_f16 v32, v52, s26 op_sel_hi:[1,0]
	v_pk_fma_f16 v22, v53, s18, v32 op_sel:[0,0,1] op_sel_hi:[1,0,0]
	v_pk_fma_f16 v32, v53, s18, v32 op_sel:[0,0,1] op_sel_hi:[1,0,0] neg_lo:[0,0,1] neg_hi:[0,0,1]
	v_add_f16_e32 v72, v78, v72
	v_bfi_b32 v78, s6, v22, v32
	v_pk_add_f16 v75, v78, v75
	v_mul_f16_sdwa v78, v52, s30 dst_sel:DWORD dst_unused:UNUSED_PAD src0_sel:WORD_1 src1_sel:DWORD
	v_fma_f16 v80, v53, s33, v78
	v_add_f16_e32 v76, v80, v76
	v_mul_f16_sdwa v80, v53, s33 dst_sel:DWORD dst_unused:UNUSED_PAD src0_sel:WORD_1 src1_sel:DWORD
	v_fma_f16 v78, v53, s33, -v78
	v_add_f16_e32 v77, v78, v77
	v_fma_f16 v78, v52, s30, v80
	v_add_f16_e32 v78, v78, v54
	v_mul_f16_sdwa v54, v52, s27 dst_sel:DWORD dst_unused:UNUSED_PAD src0_sel:WORD_1 src1_sel:DWORD
	v_fma_f16 v81, v52, s34, v80
	v_fma_f16 v80, v53, s20, v54
	v_add_f16_e32 v80, v80, v55
	v_mul_f16_sdwa v55, v53, s20 dst_sel:DWORD dst_unused:UNUSED_PAD src0_sel:WORD_1 src1_sel:DWORD
	v_fma_f16 v54, v53, s20, -v54
	v_add_f16_e32 v57, v54, v57
	v_fma_f16 v54, v52, s27, v55
	v_add_f16_e32 v58, v54, v58
	v_mul_f16_sdwa v54, v52, s35 dst_sel:DWORD dst_unused:UNUSED_PAD src0_sel:WORD_1 src1_sel:DWORD
	v_add_f16_e32 v79, v81, v79
	v_fma_f16 v81, v52, s14, v55
	v_fma_f16 v55, v53, s15, v54
	v_add_f16_e32 v59, v55, v59
	v_mul_f16_sdwa v55, v53, s15 dst_sel:DWORD dst_unused:UNUSED_PAD src0_sel:WORD_1 src1_sel:DWORD
	v_fma_f16 v54, v53, s15, -v54
	v_add_f16_e32 v61, v54, v61
	v_fma_f16 v54, v52, s35, v55
	v_add_f16_e32 v62, v54, v62
	v_mul_f16_sdwa v54, v52, s28 dst_sel:DWORD dst_unused:UNUSED_PAD src0_sel:WORD_1 src1_sel:DWORD
	v_add_f16_e32 v56, v81, v56
	;; [unrolled: 10-line block ×4, first 2 shown]
	v_fma_f16 v81, v52, s29, v55
	v_fma_f16 v55, v53, s22, v54
	v_add_f16_e32 v71, v55, v71
	v_mul_f16_sdwa v55, v53, s22 dst_sel:DWORD dst_unused:UNUSED_PAD src0_sel:WORD_1 src1_sel:DWORD
	v_fma_f16 v54, v53, s22, -v54
	v_add_f16_e32 v73, v54, v73
	v_fma_f16 v54, v52, s31, v55
	v_add_f16_e32 v74, v54, v74
	v_pk_add_f16 v54, v20, v30 neg_lo:[0,1] neg_hi:[0,1]
	v_add_f16_e32 v68, v81, v68
	v_fma_f16 v81, v52, s19, v55
	v_pk_add_f16 v55, v30, v20
	v_pk_mul_f16 v30, v54, s14 op_sel_hi:[1,0]
	v_pk_fma_f16 v20, v55, s20, v30 op_sel:[0,0,1] op_sel_hi:[1,0,0]
	v_pk_fma_f16 v30, v55, s20, v30 op_sel:[0,0,1] op_sel_hi:[1,0,0] neg_lo:[0,0,1] neg_hi:[0,0,1]
	v_add_f16_e32 v72, v81, v72
	v_bfi_b32 v81, s6, v20, v30
	v_pk_add_f16 v75, v81, v75
	v_mul_f16_sdwa v81, v54, s29 dst_sel:DWORD dst_unused:UNUSED_PAD src0_sel:WORD_1 src1_sel:DWORD
	v_fma_f16 v82, v55, s25, v81
	v_add_f16_e32 v76, v82, v76
	v_mul_f16_sdwa v82, v55, s25 dst_sel:DWORD dst_unused:UNUSED_PAD src0_sel:WORD_1 src1_sel:DWORD
	v_fma_f16 v81, v55, s25, -v81
	v_add_f16_e32 v77, v81, v77
	v_fma_f16 v81, v54, s29, v82
	v_add_f16_e32 v78, v81, v78
	v_mul_f16_sdwa v81, v54, s7 dst_sel:DWORD dst_unused:UNUSED_PAD src0_sel:WORD_1 src1_sel:DWORD
	v_fma_f16 v83, v54, s21, v82
	v_fma_f16 v82, v55, s16, v81
	v_add_f16_e32 v80, v82, v80
	v_mul_f16_sdwa v82, v55, s16 dst_sel:DWORD dst_unused:UNUSED_PAD src0_sel:WORD_1 src1_sel:DWORD
	v_add_f16_e32 v79, v83, v79
	v_fma_f16 v83, v54, s23, v82
	v_add_f16_e32 v83, v83, v56
	v_fma_f16 v56, v55, s16, -v81
	v_add_f16_e32 v81, v56, v57
	v_fma_f16 v56, v54, s7, v82
	v_add_f16_e32 v58, v56, v58
	v_mul_f16_sdwa v56, v54, s28 dst_sel:DWORD dst_unused:UNUSED_PAD src0_sel:WORD_1 src1_sel:DWORD
	v_fma_f16 v57, v55, s17, v56
	v_add_f16_e32 v59, v57, v59
	v_mul_f16_sdwa v57, v55, s17 dst_sel:DWORD dst_unused:UNUSED_PAD src0_sel:WORD_1 src1_sel:DWORD
	v_fma_f16 v56, v55, s17, -v56
	v_add_f16_e32 v61, v56, v61
	v_fma_f16 v56, v54, s28, v57
	v_add_f16_e32 v62, v56, v62
	v_mul_f16_sdwa v56, v54, s30 dst_sel:DWORD dst_unused:UNUSED_PAD src0_sel:WORD_1 src1_sel:DWORD
	v_fma_f16 v82, v54, s8, v57
	v_fma_f16 v57, v55, s33, v56
	v_add_f16_e32 v63, v57, v63
	v_mul_f16_sdwa v57, v55, s33 dst_sel:DWORD dst_unused:UNUSED_PAD src0_sel:WORD_1 src1_sel:DWORD
	v_fma_f16 v56, v55, s33, -v56
	v_add_f16_e32 v65, v56, v65
	v_fma_f16 v56, v54, s30, v57
	v_add_f16_e32 v66, v56, v66
	v_mul_f16_sdwa v56, v54, s9 dst_sel:DWORD dst_unused:UNUSED_PAD src0_sel:WORD_1 src1_sel:DWORD
	v_add_f16_e32 v60, v82, v60
	v_fma_f16 v82, v54, s34, v57
	v_fma_f16 v57, v55, s18, v56
	v_add_f16_e32 v67, v57, v67
	v_mul_f16_sdwa v57, v55, s18 dst_sel:DWORD dst_unused:UNUSED_PAD src0_sel:WORD_1 src1_sel:DWORD
	v_fma_f16 v56, v55, s18, -v56
	v_add_f16_e32 v69, v56, v69
	v_fma_f16 v56, v54, s9, v57
	v_add_f16_e32 v70, v56, v70
	v_mul_f16_sdwa v56, v54, s24 dst_sel:DWORD dst_unused:UNUSED_PAD src0_sel:WORD_1 src1_sel:DWORD
	v_add_f16_e32 v64, v82, v64
	v_fma_f16 v82, v54, s26, v57
	v_fma_f16 v57, v55, s15, v56
	v_add_f16_e32 v71, v57, v71
	v_mul_f16_sdwa v57, v55, s15 dst_sel:DWORD dst_unused:UNUSED_PAD src0_sel:WORD_1 src1_sel:DWORD
	v_fma_f16 v56, v55, s15, -v56
	v_add_f16_e32 v73, v56, v73
	v_fma_f16 v56, v54, s24, v57
	v_add_f16_e32 v74, v56, v74
	v_pk_add_f16 v56, v18, v28 neg_lo:[0,1] neg_hi:[0,1]
	v_add_f16_e32 v68, v82, v68
	v_fma_f16 v82, v54, s35, v57
	v_pk_add_f16 v57, v28, v18
	v_pk_mul_f16 v28, v56, s19 op_sel_hi:[1,0]
	v_pk_fma_f16 v18, v57, s22, v28 op_sel:[0,0,1] op_sel_hi:[1,0,0]
	v_pk_fma_f16 v28, v57, s22, v28 op_sel:[0,0,1] op_sel_hi:[1,0,0] neg_lo:[0,0,1] neg_hi:[0,0,1]
	v_add_f16_e32 v72, v82, v72
	v_bfi_b32 v82, s6, v18, v28
	v_pk_add_f16 v75, v82, v75
	v_mul_f16_sdwa v82, v56, s27 dst_sel:DWORD dst_unused:UNUSED_PAD src0_sel:WORD_1 src1_sel:DWORD
	v_fma_f16 v84, v57, s20, v82
	v_add_f16_e32 v76, v84, v76
	v_mul_f16_sdwa v84, v57, s20 dst_sel:DWORD dst_unused:UNUSED_PAD src0_sel:WORD_1 src1_sel:DWORD
	v_fma_f16 v82, v57, s20, -v82
	v_add_f16_e32 v77, v82, v77
	v_fma_f16 v82, v56, s27, v84
	v_add_f16_e32 v78, v82, v78
	v_mul_f16_sdwa v82, v56, s24 dst_sel:DWORD dst_unused:UNUSED_PAD src0_sel:WORD_1 src1_sel:DWORD
	v_fma_f16 v85, v56, s14, v84
	v_fma_f16 v84, v57, s15, v82
	v_add_f16_e32 v80, v84, v80
	v_mul_f16_sdwa v84, v57, s15 dst_sel:DWORD dst_unused:UNUSED_PAD src0_sel:WORD_1 src1_sel:DWORD
	v_fma_f16 v82, v57, s15, -v82
	v_add_f16_e32 v81, v82, v81
	v_fma_f16 v82, v56, s24, v84
	v_add_f16_e32 v58, v82, v58
	v_mul_f16_sdwa v82, v56, s21 dst_sel:DWORD dst_unused:UNUSED_PAD src0_sel:WORD_1 src1_sel:DWORD
	v_add_f16_e32 v79, v85, v79
	v_fma_f16 v85, v56, s35, v84
	v_fma_f16 v84, v57, s25, v82
	v_add_f16_e32 v59, v84, v59
	v_mul_f16_sdwa v84, v57, s25 dst_sel:DWORD dst_unused:UNUSED_PAD src0_sel:WORD_1 src1_sel:DWORD
	v_fma_f16 v82, v57, s25, -v82
	v_add_f16_e32 v61, v82, v61
	v_fma_f16 v82, v56, s21, v84
	v_add_f16_e32 v82, v82, v62
	v_mul_f16_sdwa v62, v56, s9 dst_sel:DWORD dst_unused:UNUSED_PAD src0_sel:WORD_1 src1_sel:DWORD
	v_add_f16_e32 v83, v85, v83
	;; [unrolled: 10-line block ×4, first 2 shown]
	v_fma_f16 v85, v56, s7, v63
	v_fma_f16 v63, v57, s33, v62
	v_add_f16_e32 v71, v63, v71
	v_mul_f16_sdwa v63, v57, s33 dst_sel:DWORD dst_unused:UNUSED_PAD src0_sel:WORD_1 src1_sel:DWORD
	v_fma_f16 v62, v57, s33, -v62
	v_add_f16_e32 v73, v62, v73
	v_fma_f16 v62, v56, s30, v63
	v_add_f16_e32 v74, v62, v74
	v_pk_add_f16 v62, v16, v14 neg_lo:[0,1] neg_hi:[0,1]
	v_add_f16_e32 v68, v85, v68
	v_fma_f16 v85, v56, s34, v63
	v_pk_add_f16 v63, v14, v16
	v_pk_mul_f16 v16, v62, s21 op_sel_hi:[1,0]
	v_pk_fma_f16 v14, v63, s25, v16 op_sel:[0,0,1] op_sel_hi:[1,0,0]
	v_pk_fma_f16 v16, v63, s25, v16 op_sel:[0,0,1] op_sel_hi:[1,0,0] neg_lo:[0,0,1] neg_hi:[0,0,1]
	v_add_f16_e32 v72, v85, v72
	v_bfi_b32 v85, s6, v14, v16
	v_pk_add_f16 v75, v85, v75
	v_mul_f16_sdwa v85, v62, s8 dst_sel:DWORD dst_unused:UNUSED_PAD src0_sel:WORD_1 src1_sel:DWORD
	v_fma_f16 v86, v63, s17, v85
	v_add_f16_e32 v76, v86, v76
	v_mul_f16_sdwa v86, v63, s17 dst_sel:DWORD dst_unused:UNUSED_PAD src0_sel:WORD_1 src1_sel:DWORD
	v_fma_f16 v85, v63, s17, -v85
	v_add_f16_e32 v77, v85, v77
	v_fma_f16 v85, v62, s8, v86
	v_add_f16_e32 v78, v85, v78
	v_mul_f16_sdwa v85, v62, s26 dst_sel:DWORD dst_unused:UNUSED_PAD src0_sel:WORD_1 src1_sel:DWORD
	v_fma_f16 v87, v62, s28, v86
	v_fma_f16 v86, v63, s18, v85
	v_add_f16_e32 v80, v86, v80
	v_mul_f16_sdwa v86, v63, s18 dst_sel:DWORD dst_unused:UNUSED_PAD src0_sel:WORD_1 src1_sel:DWORD
	v_fma_f16 v85, v63, s18, -v85
	v_add_f16_e32 v81, v85, v81
	v_fma_f16 v85, v62, s26, v86
	v_add_f16_e32 v85, v85, v58
	v_mul_f16_sdwa v58, v62, s31 dst_sel:DWORD dst_unused:UNUSED_PAD src0_sel:WORD_1 src1_sel:DWORD
	v_add_f16_e32 v79, v87, v79
	v_fma_f16 v87, v62, s9, v86
	v_fma_f16 v86, v63, s22, v58
	v_add_f16_e32 v86, v86, v59
	v_mul_f16_sdwa v59, v63, s22 dst_sel:DWORD dst_unused:UNUSED_PAD src0_sel:WORD_1 src1_sel:DWORD
	v_fma_f16 v58, v63, s22, -v58
	v_add_f16_e32 v88, v58, v61
	v_fma_f16 v58, v62, s31, v59
	v_add_f16_e32 v82, v58, v82
	v_mul_f16_sdwa v58, v62, s24 dst_sel:DWORD dst_unused:UNUSED_PAD src0_sel:WORD_1 src1_sel:DWORD
	v_add_f16_e32 v83, v87, v83
	;; [unrolled: 10-line block ×4, first 2 shown]
	v_fma_f16 v60, v62, s34, v59
	v_fma_f16 v59, v63, s16, v58
	v_add_f16_e32 v71, v59, v71
	v_mul_f16_sdwa v59, v63, s16 dst_sel:DWORD dst_unused:UNUSED_PAD src0_sel:WORD_1 src1_sel:DWORD
	v_add_f16_e32 v68, v60, v68
	v_fma_f16 v60, v62, s23, v59
	v_add_f16_e32 v93, v60, v72
	v_fma_f16 v58, v63, s16, -v58
	v_pk_add_f16 v72, v12, v10 neg_lo:[0,1] neg_hi:[0,1]
	v_add_f16_e32 v94, v58, v73
	v_pk_add_f16 v73, v10, v12
	v_pk_mul_f16 v12, v72, s30 op_sel_hi:[1,0]
	v_fma_f16 v58, v62, s7, v59
	v_pk_fma_f16 v10, v73, s33, v12 op_sel:[0,0,1] op_sel_hi:[1,0,0]
	v_pk_fma_f16 v12, v73, s33, v12 op_sel:[0,0,1] op_sel_hi:[1,0,0] neg_lo:[0,0,1] neg_hi:[0,0,1]
	v_add_f16_e32 v74, v58, v74
	v_bfi_b32 v58, s6, v10, v12
	v_pk_add_f16 v75, v58, v75
	v_mul_f16_sdwa v58, v72, s35 dst_sel:DWORD dst_unused:UNUSED_PAD src0_sel:WORD_1 src1_sel:DWORD
	v_fma_f16 v59, v73, s15, v58
	v_add_f16_e32 v76, v59, v76
	v_mul_f16_sdwa v59, v73, s15 dst_sel:DWORD dst_unused:UNUSED_PAD src0_sel:WORD_1 src1_sel:DWORD
	v_fma_f16 v60, v72, s24, v59
	v_add_f16_e32 v79, v60, v79
	v_mul_f16_sdwa v60, v72, s21 dst_sel:DWORD dst_unused:UNUSED_PAD src0_sel:WORD_1 src1_sel:DWORD
	v_fma_f16 v58, v73, s15, -v58
	v_fma_f16 v61, v73, s25, v60
	v_add_f16_e32 v58, v58, v77
	v_add_f16_e32 v77, v61, v80
	v_mul_f16_sdwa v61, v73, s25 dst_sel:DWORD dst_unused:UNUSED_PAD src0_sel:WORD_1 src1_sel:DWORD
	v_fma_f16 v59, v72, s35, v59
	v_fma_f16 v64, v72, s29, v61
	v_add_f16_e32 v59, v59, v78
	v_add_f16_e32 v78, v64, v83
	v_mul_f16_sdwa v64, v72, s7 dst_sel:DWORD dst_unused:UNUSED_PAD src0_sel:WORD_1 src1_sel:DWORD
	v_fma_f16 v65, v73, s16, v64
	v_add_f16_e32 v80, v65, v86
	v_mul_f16_sdwa v65, v73, s16 dst_sel:DWORD dst_unused:UNUSED_PAD src0_sel:WORD_1 src1_sel:DWORD
	v_fma_f16 v60, v73, s25, -v60
	v_fma_f16 v66, v72, s23, v65
	v_add_f16_e32 v60, v60, v81
	v_add_f16_e32 v81, v66, v87
	v_mul_f16_sdwa v66, v72, s19 dst_sel:DWORD dst_unused:UNUSED_PAD src0_sel:WORD_1 src1_sel:DWORD
	v_fma_f16 v65, v72, s7, v65
	v_fma_f16 v67, v73, s22, v66
	v_mul_f16_sdwa v86, v73, s17 dst_sel:DWORD dst_unused:UNUSED_PAD src0_sel:WORD_1 src1_sel:DWORD
	v_add_f16_e32 v65, v65, v82
	v_add_f16_e32 v82, v67, v84
	v_mul_f16_sdwa v84, v72, s8 dst_sel:DWORD dst_unused:UNUSED_PAD src0_sel:WORD_1 src1_sel:DWORD
	v_fma_f16 v87, v72, s28, v86
	v_add_f16_e32 v87, v87, v68
	v_fma_f16 v68, v73, s17, -v84
	v_add_f16_e32 v68, v68, v69
	v_fma_f16 v69, v72, s8, v86
	v_fma_f16 v61, v72, s21, v61
	v_add_f16_e32 v69, v69, v70
	v_mul_f16_sdwa v70, v72, s14 dst_sel:DWORD dst_unused:UNUSED_PAD src0_sel:WORD_1 src1_sel:DWORD
	v_add_f16_e32 v61, v61, v85
	v_fma_f16 v85, v73, s17, v84
	v_fma_f16 v84, v73, s20, v70
	v_mul_f16_sdwa v67, v73, s22 dst_sel:DWORD dst_unused:UNUSED_PAD src0_sel:WORD_1 src1_sel:DWORD
	v_add_f16_e32 v84, v84, v71
	v_mul_f16_sdwa v71, v73, s20 dst_sel:DWORD dst_unused:UNUSED_PAD src0_sel:WORD_1 src1_sel:DWORD
	v_fma_f16 v83, v72, s31, v67
	v_fma_f16 v86, v72, s27, v71
	;; [unrolled: 1-line block ×3, first 2 shown]
	v_add_f16_e32 v83, v83, v89
	v_add_f16_e32 v71, v71, v74
	ds_write2_b32 v43, v51, v75 offset1:1
	v_pack_b32_f16 v51, v77, v78
	v_pack_b32_f16 v74, v76, v79
	v_add_f16_e32 v85, v85, v92
	v_add_f16_e32 v86, v86, v93
	ds_write2_b32 v43, v74, v51 offset0:2 offset1:3
	v_pack_b32_f16 v51, v82, v83
	v_pack_b32_f16 v74, v80, v81
	ds_write2_b32 v43, v74, v51 offset0:4 offset1:5
	v_pack_b32_f16 v51, v84, v86
	v_pack_b32_f16 v74, v85, v87
	v_pk_mul_f16 v46, v46, s33 op_sel_hi:[1,0]
	ds_write2_b32 v43, v74, v51 offset0:6 offset1:7
	v_pk_fma_f16 v51, v45, s30, v46 op_sel:[0,0,1] op_sel_hi:[1,0,0]
	v_pk_fma_f16 v45, v45, s30, v46 op_sel:[0,0,1] op_sel_hi:[1,0,0] neg_lo:[1,0,0] neg_hi:[1,0,0]
	v_alignbit_b32 v46, s0, v44, 16
	v_pk_mul_f16 v48, v48, s15 op_sel_hi:[1,0]
	v_alignbit_b32 v74, s0, v51, 16
	v_pk_add_f16 v45, v44, v45 op_sel:[1,0] op_sel_hi:[0,1]
	v_pk_add_f16 v46, v46, v51
	v_pk_fma_f16 v51, v47, s35, v48 op_sel:[0,0,1] op_sel_hi:[1,0,0]
	v_pk_fma_f16 v47, v47, s35, v48 op_sel:[0,0,1] op_sel_hi:[1,0,0] neg_lo:[1,0,0] neg_hi:[1,0,0]
	v_pk_add_f16 v45, v47, v45
	v_pk_mul_f16 v47, v50, s25 op_sel_hi:[1,0]
	v_pk_fma_f16 v48, v49, s21, v47 op_sel:[0,0,1] op_sel_hi:[1,0,0]
	v_pk_fma_f16 v47, v49, s21, v47 op_sel:[0,0,1] op_sel_hi:[1,0,0] neg_lo:[1,0,0] neg_hi:[1,0,0]
	v_pk_add_f16 v46, v51, v46
	v_pk_add_f16 v45, v47, v45
	v_pk_mul_f16 v47, v53, s16 op_sel_hi:[1,0]
	v_alignbit_b32 v50, s0, v48, 16
	v_pk_add_f16 v46, v48, v46
	v_pk_fma_f16 v48, v52, s7, v47 op_sel:[0,0,1] op_sel_hi:[1,0,0]
	v_pk_fma_f16 v47, v52, s7, v47 op_sel:[0,0,1] op_sel_hi:[1,0,0] neg_lo:[1,0,0] neg_hi:[1,0,0]
	v_pk_add_f16 v74, v44, v74
	v_alignbit_b32 v75, s0, v51, 16
	v_pk_add_f16 v45, v47, v45
	v_pk_mul_f16 v47, v55, s22 op_sel_hi:[1,0]
	v_pk_add_f16 v74, v75, v74
	v_alignbit_b32 v49, s0, v48, 16
	v_pk_add_f16 v46, v48, v46
	v_pk_fma_f16 v48, v54, s19, v47 op_sel:[0,0,1] op_sel_hi:[1,0,0]
	v_pk_fma_f16 v47, v54, s19, v47 op_sel:[0,0,1] op_sel_hi:[1,0,0] neg_lo:[1,0,0] neg_hi:[1,0,0]
	v_pk_add_f16 v50, v50, v74
	v_pk_add_f16 v45, v47, v45
	v_pk_mul_f16 v47, v57, s17 op_sel_hi:[1,0]
	v_pk_add_f16 v49, v49, v50
	v_alignbit_b32 v50, s0, v48, 16
	v_pk_add_f16 v46, v48, v46
	v_pk_fma_f16 v48, v56, s8, v47 op_sel:[0,0,1] op_sel_hi:[1,0,0]
	v_pk_fma_f16 v47, v56, s8, v47 op_sel:[0,0,1] op_sel_hi:[1,0,0] neg_lo:[1,0,0] neg_hi:[1,0,0]
	v_pk_add_f16 v45, v47, v45
	v_pk_mul_f16 v47, v63, s20 op_sel_hi:[1,0]
	v_pk_add_f16 v49, v50, v49
	v_alignbit_b32 v50, s0, v48, 16
	v_pk_add_f16 v46, v48, v46
	v_pk_fma_f16 v48, v62, s14, v47 op_sel:[0,0,1] op_sel_hi:[1,0,0]
	v_pk_fma_f16 v47, v62, s14, v47 op_sel:[0,0,1] op_sel_hi:[1,0,0] neg_lo:[1,0,0] neg_hi:[1,0,0]
	v_bfi_b32 v8, s6, v38, v8
	v_pk_add_f16 v45, v47, v45
	v_pk_mul_f16 v47, v73, s18 op_sel_hi:[1,0]
	v_pk_add_f16 v8, v44, v8
	v_bfi_b32 v26, s6, v36, v26
	v_pk_add_f16 v49, v50, v49
	v_alignbit_b32 v50, s0, v48, 16
	v_pk_add_f16 v46, v48, v46
	v_pk_fma_f16 v48, v72, s9, v47 op_sel:[0,0,1] op_sel_hi:[1,0,0]
	v_pk_add_f16 v8, v26, v8
	v_bfi_b32 v24, s6, v34, v24
	v_pk_add_f16 v49, v50, v49
	v_alignbit_b32 v50, s0, v48, 16
	v_pk_fma_f16 v47, v72, s9, v47 op_sel:[0,0,1] op_sel_hi:[1,0,0] neg_lo:[1,0,0] neg_hi:[1,0,0]
	v_pk_add_f16 v8, v24, v8
	v_bfi_b32 v22, s6, v32, v22
	v_fma_f16 v70, v73, s20, -v70
	v_pk_add_f16 v49, v50, v49
	v_pk_add_f16 v45, v47, v45
	;; [unrolled: 1-line block ×4, first 2 shown]
	v_bfi_b32 v20, s6, v30, v20
	v_fma_f16 v64, v73, s16, -v64
	v_fma_f16 v66, v73, s22, -v66
	v_fma_f16 v67, v72, s19, v67
	v_add_f16_e32 v70, v70, v94
	v_alignbit_b32 v46, v46, v45, 16
	v_pack_b32_f16 v45, v49, v45
	v_pk_add_f16 v8, v20, v8
	v_bfi_b32 v18, s6, v28, v18
	v_add_f16_e32 v64, v64, v88
	v_add_f16_e32 v66, v66, v90
	;; [unrolled: 1-line block ×3, first 2 shown]
	ds_write2_b32 v43, v45, v46 offset0:8 offset1:9
	v_pack_b32_f16 v45, v68, v69
	v_pack_b32_f16 v46, v70, v71
	v_pk_add_f16 v8, v18, v8
	v_bfi_b32 v14, s6, v16, v14
	ds_write2_b32 v43, v46, v45 offset0:10 offset1:11
	v_pack_b32_f16 v45, v64, v65
	v_pack_b32_f16 v46, v66, v67
	v_pk_add_f16 v8, v14, v8
	v_bfi_b32 v10, s6, v12, v10
	ds_write2_b32 v43, v46, v45 offset0:12 offset1:13
	v_pack_b32_f16 v45, v58, v59
	v_pack_b32_f16 v46, v60, v61
	v_pk_add_f16 v8, v10, v8
	v_cmp_gt_u32_e64 s[0:1], 7, v3
	ds_write2_b32 v43, v46, v45 offset0:14 offset1:15
	ds_write_b32 v43, v8 offset:64
	s_and_saveexec_b64 s[4:5], s[0:1]
	s_cbranch_execz .LBB0_20
; %bb.19:
	v_pk_add_f16 v8, v7, v25
	v_pk_add_f16 v8, v8, v23
	;; [unrolled: 1-line block ×17, first 2 shown]
	v_pk_add_f16 v8, v25, v42 neg_lo:[0,1] neg_hi:[0,1]
	v_pk_add_f16 v24, v37, v23
	v_pk_add_f16 v20, v31, v17
	v_pk_add_f16 v16, v17, v31 neg_lo:[0,1] neg_hi:[0,1]
	v_pk_add_f16 v17, v13, v9
	v_pk_add_f16 v9, v9, v13 neg_lo:[0,1] neg_hi:[0,1]
	v_mul_f16_sdwa v13, v26, s25 dst_sel:DWORD dst_unused:UNUSED_PAD src0_sel:WORD_1 src1_sel:DWORD
	v_pk_add_f16 v10, v23, v37 neg_lo:[0,1] neg_hi:[0,1]
	v_fma_f16 v23, v8, s29, v13
	v_mul_f16_sdwa v25, v24, s17 dst_sel:DWORD dst_unused:UNUSED_PAD src0_sel:WORD_1 src1_sel:DWORD
	v_pk_add_f16 v22, v35, v21
	v_pk_add_f16 v18, v27, v11
	v_pk_add_f16 v11, v11, v27 neg_lo:[0,1] neg_hi:[0,1]
	v_add_f16_sdwa v23, v7, v23 dst_sel:DWORD dst_unused:UNUSED_PAD src0_sel:WORD_1 src1_sel:DWORD
	v_fma_f16 v27, v10, s28, v25
	v_pk_add_f16 v12, v21, v35 neg_lo:[0,1] neg_hi:[0,1]
	v_add_f16_e32 v23, v27, v23
	v_mul_f16_sdwa v27, v22, s18 dst_sel:DWORD dst_unused:UNUSED_PAD src0_sel:WORD_1 src1_sel:DWORD
	v_pk_add_f16 v21, v33, v19
	v_pk_add_f16 v14, v19, v33 neg_lo:[0,1] neg_hi:[0,1]
	v_pk_add_f16 v19, v29, v15
	v_pk_add_f16 v15, v15, v29 neg_lo:[0,1] neg_hi:[0,1]
	v_fma_f16 v29, v12, s9, v27
	v_add_f16_e32 v23, v29, v23
	v_mul_f16_sdwa v29, v21, s22 dst_sel:DWORD dst_unused:UNUSED_PAD src0_sel:WORD_1 src1_sel:DWORD
	v_fma_f16 v30, v14, s19, v29
	v_add_f16_e32 v23, v30, v23
	v_mul_f16_sdwa v30, v20, s15 dst_sel:DWORD dst_unused:UNUSED_PAD src0_sel:WORD_1 src1_sel:DWORD
	v_fma_f16 v31, v16, s35, v30
	v_add_f16_e32 v23, v31, v23
	v_mul_f16_sdwa v31, v19, s33 dst_sel:DWORD dst_unused:UNUSED_PAD src0_sel:WORD_1 src1_sel:DWORD
	v_fma_f16 v32, v15, s34, v31
	v_add_f16_e32 v23, v32, v23
	v_mul_f16_sdwa v32, v18, s16 dst_sel:DWORD dst_unused:UNUSED_PAD src0_sel:WORD_1 src1_sel:DWORD
	v_fma_f16 v33, v11, s23, v32
	v_add_f16_e32 v23, v33, v23
	v_mul_f16_sdwa v33, v17, s20 dst_sel:DWORD dst_unused:UNUSED_PAD src0_sel:WORD_1 src1_sel:DWORD
	v_fma_f16 v34, v9, s27, v33
	v_add_f16_e32 v23, v34, v23
	v_mul_f16_sdwa v34, v8, s21 dst_sel:DWORD dst_unused:UNUSED_PAD src0_sel:WORD_1 src1_sel:DWORD
	v_fma_f16 v35, v26, s25, v34
	v_mul_f16_sdwa v36, v10, s8 dst_sel:DWORD dst_unused:UNUSED_PAD src0_sel:WORD_1 src1_sel:DWORD
	v_add_f16_e32 v35, v7, v35
	v_fma_f16 v37, v24, s17, v36
	v_add_f16_e32 v35, v37, v35
	v_mul_f16_sdwa v37, v12, s26 dst_sel:DWORD dst_unused:UNUSED_PAD src0_sel:WORD_1 src1_sel:DWORD
	v_fma_f16 v38, v22, s18, v37
	v_add_f16_e32 v35, v38, v35
	v_mul_f16_sdwa v38, v14, s31 dst_sel:DWORD dst_unused:UNUSED_PAD src0_sel:WORD_1 src1_sel:DWORD
	v_fma_f16 v42, v21, s22, v38
	v_add_f16_e32 v35, v42, v35
	v_mul_f16_sdwa v42, v16, s24 dst_sel:DWORD dst_unused:UNUSED_PAD src0_sel:WORD_1 src1_sel:DWORD
	v_fma_f16 v43, v20, s15, v42
	v_add_f16_e32 v35, v43, v35
	v_mul_f16_sdwa v43, v15, s30 dst_sel:DWORD dst_unused:UNUSED_PAD src0_sel:WORD_1 src1_sel:DWORD
	v_fma_f16 v44, v19, s33, v43
	v_add_f16_e32 v35, v44, v35
	v_mul_f16_sdwa v44, v11, s7 dst_sel:DWORD dst_unused:UNUSED_PAD src0_sel:WORD_1 src1_sel:DWORD
	v_fma_f16 v45, v18, s16, v44
	v_add_f16_e32 v35, v45, v35
	v_mul_f16_sdwa v45, v9, s14 dst_sel:DWORD dst_unused:UNUSED_PAD src0_sel:WORD_1 src1_sel:DWORD
	v_fma_f16 v46, v17, s20, v45
	v_add_f16_e32 v35, v46, v35
	v_mul_f16_sdwa v46, v26, s22 dst_sel:DWORD dst_unused:UNUSED_PAD src0_sel:WORD_1 src1_sel:DWORD
	v_fma_f16 v47, v8, s31, v46
	v_mul_f16_sdwa v48, v24, s20 dst_sel:DWORD dst_unused:UNUSED_PAD src0_sel:WORD_1 src1_sel:DWORD
	v_add_f16_sdwa v47, v7, v47 dst_sel:DWORD dst_unused:UNUSED_PAD src0_sel:WORD_1 src1_sel:DWORD
	v_fma_f16 v49, v10, s14, v48
	v_add_f16_e32 v47, v49, v47
	v_mul_f16_sdwa v49, v22, s15 dst_sel:DWORD dst_unused:UNUSED_PAD src0_sel:WORD_1 src1_sel:DWORD
	v_fma_f16 v50, v12, s35, v49
	v_add_f16_e32 v47, v50, v47
	v_mul_f16_sdwa v50, v21, s25 dst_sel:DWORD dst_unused:UNUSED_PAD src0_sel:WORD_1 src1_sel:DWORD
	v_fma_f16 v51, v14, s29, v50
	v_add_f16_e32 v47, v51, v47
	v_mul_f16_sdwa v51, v20, s18 dst_sel:DWORD dst_unused:UNUSED_PAD src0_sel:WORD_1 src1_sel:DWORD
	v_fma_f16 v52, v16, s26, v51
	v_add_f16_e32 v47, v52, v47
	v_mul_f16_sdwa v52, v19, s16 dst_sel:DWORD dst_unused:UNUSED_PAD src0_sel:WORD_1 src1_sel:DWORD
	v_fma_f16 v53, v15, s7, v52
	v_add_f16_e32 v47, v53, v47
	v_mul_f16_sdwa v53, v18, s33 dst_sel:DWORD dst_unused:UNUSED_PAD src0_sel:WORD_1 src1_sel:DWORD
	v_fma_f16 v54, v11, s34, v53
	v_add_f16_e32 v47, v54, v47
	v_mul_f16_sdwa v54, v17, s17 dst_sel:DWORD dst_unused:UNUSED_PAD src0_sel:WORD_1 src1_sel:DWORD
	v_fma_f16 v55, v9, s28, v54
	v_add_f16_e32 v47, v55, v47
	v_mul_f16_sdwa v55, v8, s19 dst_sel:DWORD dst_unused:UNUSED_PAD src0_sel:WORD_1 src1_sel:DWORD
	v_fma_f16 v56, v26, s22, v55
	v_mul_f16_sdwa v57, v10, s27 dst_sel:DWORD dst_unused:UNUSED_PAD src0_sel:WORD_1 src1_sel:DWORD
	v_add_f16_e32 v56, v7, v56
	v_fma_f16 v58, v24, s20, v57
	v_add_f16_e32 v56, v58, v56
	v_mul_f16_sdwa v58, v12, s24 dst_sel:DWORD dst_unused:UNUSED_PAD src0_sel:WORD_1 src1_sel:DWORD
	v_fma_f16 v59, v22, s15, v58
	v_add_f16_e32 v56, v59, v56
	v_mul_f16_sdwa v59, v14, s21 dst_sel:DWORD dst_unused:UNUSED_PAD src0_sel:WORD_1 src1_sel:DWORD
	v_fma_f16 v60, v21, s25, v59
	v_add_f16_e32 v56, v60, v56
	v_mul_f16_sdwa v60, v16, s9 dst_sel:DWORD dst_unused:UNUSED_PAD src0_sel:WORD_1 src1_sel:DWORD
	v_fma_f16 v61, v20, s18, v60
	v_add_f16_e32 v56, v61, v56
	v_mul_f16_sdwa v61, v15, s23 dst_sel:DWORD dst_unused:UNUSED_PAD src0_sel:WORD_1 src1_sel:DWORD
	v_fma_f16 v62, v19, s16, v61
	v_add_f16_e32 v56, v62, v56
	v_mul_f16_sdwa v62, v11, s30 dst_sel:DWORD dst_unused:UNUSED_PAD src0_sel:WORD_1 src1_sel:DWORD
	v_fma_f16 v63, v18, s33, v62
	v_add_f16_e32 v56, v63, v56
	v_mul_f16_sdwa v63, v9, s8 dst_sel:DWORD dst_unused:UNUSED_PAD src0_sel:WORD_1 src1_sel:DWORD
	v_fma_f16 v64, v17, s17, v63
	v_add_f16_e32 v56, v64, v56
	v_mul_f16_sdwa v64, v26, s20 dst_sel:DWORD dst_unused:UNUSED_PAD src0_sel:WORD_1 src1_sel:DWORD
	v_fma_f16 v65, v8, s27, v64
	v_mul_f16_sdwa v66, v24, s25 dst_sel:DWORD dst_unused:UNUSED_PAD src0_sel:WORD_1 src1_sel:DWORD
	v_add_f16_sdwa v65, v7, v65 dst_sel:DWORD dst_unused:UNUSED_PAD src0_sel:WORD_1 src1_sel:DWORD
	v_fma_f16 v67, v10, s21, v66
	v_add_f16_e32 v65, v67, v65
	v_mul_f16_sdwa v67, v22, s16 dst_sel:DWORD dst_unused:UNUSED_PAD src0_sel:WORD_1 src1_sel:DWORD
	;; [unrolled: 48-line block ×3, first 2 shown]
	v_fma_f16 v86, v12, s14, v85
	v_add_f16_e32 v83, v86, v83
	v_mul_f16_sdwa v86, v21, s15 dst_sel:DWORD dst_unused:UNUSED_PAD src0_sel:WORD_1 src1_sel:DWORD
	v_fma_f16 v87, v14, s24, v86
	v_add_f16_e32 v83, v87, v83
	v_mul_f16_sdwa v87, v20, s17 dst_sel:DWORD dst_unused:UNUSED_PAD src0_sel:WORD_1 src1_sel:DWORD
	;; [unrolled: 3-line block ×6, first 2 shown]
	v_fma_f16 v92, v26, s18, v91
	v_mul_f16_sdwa v93, v10, s30 dst_sel:DWORD dst_unused:UNUSED_PAD src0_sel:WORD_1 src1_sel:DWORD
	v_add_f16_e32 v92, v7, v92
	v_fma_f16 v94, v24, s33, v93
	v_fma_f16 v13, v8, s21, v13
	v_add_f16_e32 v92, v94, v92
	v_mul_f16_sdwa v94, v12, s27 dst_sel:DWORD dst_unused:UNUSED_PAD src0_sel:WORD_1 src1_sel:DWORD
	v_add_f16_sdwa v13, v7, v13 dst_sel:DWORD dst_unused:UNUSED_PAD src0_sel:WORD_1 src1_sel:DWORD
	v_fma_f16 v25, v10, s8, v25
	v_fma_f16 v95, v22, s20, v94
	v_add_f16_e32 v13, v25, v13
	v_fma_f16 v25, v12, s26, v27
	v_add_f16_e32 v92, v95, v92
	v_mul_f16_sdwa v95, v14, s35 dst_sel:DWORD dst_unused:UNUSED_PAD src0_sel:WORD_1 src1_sel:DWORD
	v_add_f16_e32 v13, v25, v13
	v_fma_f16 v25, v14, s31, v29
	v_fma_f16 v96, v21, s15, v95
	v_add_f16_e32 v13, v25, v13
	v_fma_f16 v25, v16, s24, v30
	v_add_f16_e32 v92, v96, v92
	v_mul_f16_sdwa v96, v16, s28 dst_sel:DWORD dst_unused:UNUSED_PAD src0_sel:WORD_1 src1_sel:DWORD
	v_add_f16_e32 v13, v25, v13
	v_fma_f16 v25, v15, s30, v31
	v_fma_f16 v97, v20, s17, v96
	v_add_f16_e32 v13, v25, v13
	v_fma_f16 v25, v11, s7, v32
	v_add_f16_e32 v92, v97, v92
	v_mul_f16_sdwa v97, v15, s21 dst_sel:DWORD dst_unused:UNUSED_PAD src0_sel:WORD_1 src1_sel:DWORD
	v_add_f16_e32 v13, v25, v13
	v_fma_f16 v25, v9, s14, v33
	v_fma_f16 v98, v19, s25, v97
	v_add_f16_e32 v13, v25, v13
	v_fma_f16 v25, v26, s25, -v34
	v_add_f16_e32 v92, v98, v92
	v_mul_f16_sdwa v98, v11, s31 dst_sel:DWORD dst_unused:UNUSED_PAD src0_sel:WORD_1 src1_sel:DWORD
	v_add_f16_e32 v25, v7, v25
	v_fma_f16 v27, v24, s17, -v36
	v_fma_f16 v99, v18, s22, v98
	v_add_f16_e32 v25, v27, v25
	v_fma_f16 v27, v22, s18, -v37
	v_add_f16_e32 v92, v99, v92
	v_mul_f16_sdwa v99, v9, s7 dst_sel:DWORD dst_unused:UNUSED_PAD src0_sel:WORD_1 src1_sel:DWORD
	v_add_f16_e32 v25, v27, v25
	v_fma_f16 v27, v21, s22, -v38
	;; [unrolled: 7-line block ×3, first 2 shown]
	v_fma_f16 v101, v8, s8, v100
	v_mul_f16_sdwa v102, v24, s22 dst_sel:DWORD dst_unused:UNUSED_PAD src0_sel:WORD_1 src1_sel:DWORD
	v_add_f16_e32 v25, v27, v25
	v_fma_f16 v27, v18, s16, -v44
	v_add_f16_sdwa v101, v7, v101 dst_sel:DWORD dst_unused:UNUSED_PAD src0_sel:WORD_1 src1_sel:DWORD
	v_fma_f16 v103, v10, s31, v102
	v_add_f16_e32 v25, v27, v25
	v_fma_f16 v27, v17, s20, -v45
	v_add_f16_e32 v101, v103, v101
	v_mul_f16_sdwa v103, v22, s33 dst_sel:DWORD dst_unused:UNUSED_PAD src0_sel:WORD_1 src1_sel:DWORD
	v_add_f16_e32 v25, v27, v25
	v_fma_f16 v27, v8, s19, v46
	v_fma_f16 v104, v12, s30, v103
	v_add_f16_sdwa v27, v7, v27 dst_sel:DWORD dst_unused:UNUSED_PAD src0_sel:WORD_1 src1_sel:DWORD
	v_fma_f16 v29, v10, s27, v48
	v_add_f16_e32 v101, v104, v101
	v_mul_f16_sdwa v104, v21, s20 dst_sel:DWORD dst_unused:UNUSED_PAD src0_sel:WORD_1 src1_sel:DWORD
	v_add_f16_e32 v27, v29, v27
	v_fma_f16 v29, v12, s24, v49
	v_fma_f16 v105, v14, s14, v104
	v_add_f16_e32 v27, v29, v27
	v_fma_f16 v29, v14, s21, v50
	v_add_f16_e32 v101, v105, v101
	v_mul_f16_sdwa v105, v20, s16 dst_sel:DWORD dst_unused:UNUSED_PAD src0_sel:WORD_1 src1_sel:DWORD
	v_add_f16_e32 v27, v29, v27
	v_fma_f16 v29, v16, s9, v51
	v_fma_f16 v106, v16, s23, v105
	v_add_f16_e32 v27, v29, v27
	;; [unrolled: 7-line block ×3, first 2 shown]
	v_fma_f16 v29, v9, s8, v54
	v_add_f16_e32 v101, v107, v101
	v_mul_f16_sdwa v107, v18, s18 dst_sel:DWORD dst_unused:UNUSED_PAD src0_sel:WORD_1 src1_sel:DWORD
	v_add_f16_e32 v27, v29, v27
	v_fma_f16 v29, v26, s22, -v55
	v_fma_f16 v108, v11, s9, v107
	v_add_f16_e32 v29, v7, v29
	v_fma_f16 v30, v24, s20, -v57
	v_add_f16_e32 v101, v108, v101
	v_mul_f16_sdwa v108, v17, s25 dst_sel:DWORD dst_unused:UNUSED_PAD src0_sel:WORD_1 src1_sel:DWORD
	v_add_f16_e32 v29, v30, v29
	v_fma_f16 v30, v22, s15, -v58
	v_fma_f16 v109, v9, s29, v108
	v_add_f16_e32 v29, v30, v29
	v_fma_f16 v30, v21, s25, -v59
	v_add_f16_e32 v101, v109, v101
	v_mul_f16_sdwa v109, v8, s28 dst_sel:DWORD dst_unused:UNUSED_PAD src0_sel:WORD_1 src1_sel:DWORD
	v_add_f16_e32 v29, v30, v29
	v_fma_f16 v30, v20, s18, -v60
	v_fma_f16 v110, v26, s17, v109
	v_mul_f16_sdwa v111, v10, s19 dst_sel:DWORD dst_unused:UNUSED_PAD src0_sel:WORD_1 src1_sel:DWORD
	v_add_f16_e32 v29, v30, v29
	v_fma_f16 v30, v19, s16, -v61
	v_add_f16_e32 v110, v7, v110
	v_fma_f16 v112, v24, s22, v111
	v_add_f16_e32 v29, v30, v29
	v_fma_f16 v30, v18, s33, -v62
	v_add_f16_e32 v110, v112, v110
	v_mul_f16_sdwa v112, v12, s34 dst_sel:DWORD dst_unused:UNUSED_PAD src0_sel:WORD_1 src1_sel:DWORD
	v_add_f16_e32 v29, v30, v29
	v_fma_f16 v30, v17, s17, -v63
	v_fma_f16 v113, v22, s33, v112
	v_add_f16_e32 v29, v30, v29
	v_fma_f16 v30, v8, s14, v64
	v_add_f16_e32 v110, v113, v110
	v_mul_f16_sdwa v113, v14, s27 dst_sel:DWORD dst_unused:UNUSED_PAD src0_sel:WORD_1 src1_sel:DWORD
	v_add_f16_sdwa v30, v7, v30 dst_sel:DWORD dst_unused:UNUSED_PAD src0_sel:WORD_1 src1_sel:DWORD
	v_fma_f16 v31, v10, s29, v66
	v_fma_f16 v114, v21, s20, v113
	v_add_f16_e32 v30, v31, v30
	v_fma_f16 v31, v12, s7, v67
	v_add_f16_e32 v110, v114, v110
	v_mul_f16_sdwa v114, v16, s7 dst_sel:DWORD dst_unused:UNUSED_PAD src0_sel:WORD_1 src1_sel:DWORD
	v_add_f16_e32 v30, v31, v30
	v_fma_f16 v31, v14, s28, v68
	v_fma_f16 v115, v20, s16, v114
	v_add_f16_e32 v30, v31, v30
	v_fma_f16 v32, v16, s30, v69
	v_add_f16_e32 v110, v115, v110
	v_mul_f16_sdwa v115, v15, s24 dst_sel:DWORD dst_unused:UNUSED_PAD src0_sel:WORD_1 src1_sel:DWORD
	v_add_f16_e32 v30, v32, v30
	;; [unrolled: 7-line block ×3, first 2 shown]
	v_fma_f16 v32, v9, s19, v72
	v_fma_f16 v117, v18, s18, v116
	v_add_f16_e32 v30, v32, v30
	v_fma_f16 v32, v26, s20, -v73
	v_add_f16_e32 v110, v117, v110
	v_mul_f16_sdwa v117, v9, s21 dst_sel:DWORD dst_unused:UNUSED_PAD src0_sel:WORD_1 src1_sel:DWORD
	v_add_f16_e32 v32, v7, v32
	v_fma_f16 v33, v24, s25, -v75
	v_fma_f16 v118, v17, s25, v117
	v_add_f16_e32 v32, v33, v32
	v_fma_f16 v33, v22, s16, -v76
	v_add_f16_e32 v110, v118, v110
	v_mul_f16_sdwa v118, v26, s16 dst_sel:DWORD dst_unused:UNUSED_PAD src0_sel:WORD_1 src1_sel:DWORD
	v_add_f16_e32 v32, v33, v32
	v_fma_f16 v33, v21, s17, -v77
	v_fma_f16 v119, v8, s7, v118
	v_mul_f16_sdwa v120, v24, s18 dst_sel:DWORD dst_unused:UNUSED_PAD src0_sel:WORD_1 src1_sel:DWORD
	v_add_f16_e32 v32, v33, v32
	v_fma_f16 v33, v20, s33, -v78
	v_add_f16_sdwa v119, v7, v119 dst_sel:DWORD dst_unused:UNUSED_PAD src0_sel:WORD_1 src1_sel:DWORD
	v_fma_f16 v121, v10, s9, v120
	v_add_f16_e32 v32, v33, v32
	v_fma_f16 v33, v19, s18, -v79
	v_add_f16_e32 v119, v121, v119
	v_mul_f16_sdwa v121, v22, s22 dst_sel:DWORD dst_unused:UNUSED_PAD src0_sel:WORD_1 src1_sel:DWORD
	v_add_f16_e32 v32, v33, v32
	v_fma_f16 v33, v18, s15, -v80
	v_fma_f16 v122, v12, s31, v121
	v_add_f16_e32 v32, v33, v32
	v_fma_f16 v33, v17, s22, -v81
	v_add_f16_e32 v119, v122, v119
	v_mul_f16_sdwa v122, v21, s33 dst_sel:DWORD dst_unused:UNUSED_PAD src0_sel:WORD_1 src1_sel:DWORD
	v_add_f16_e32 v32, v33, v32
	v_fma_f16 v33, v8, s26, v82
	v_fma_f16 v123, v14, s34, v122
	v_add_f16_sdwa v33, v7, v33 dst_sel:DWORD dst_unused:UNUSED_PAD src0_sel:WORD_1 src1_sel:DWORD
	v_fma_f16 v34, v10, s30, v84
	v_add_f16_e32 v119, v123, v119
	v_mul_f16_sdwa v123, v20, s25 dst_sel:DWORD dst_unused:UNUSED_PAD src0_sel:WORD_1 src1_sel:DWORD
	v_add_f16_e32 v33, v34, v33
	v_fma_f16 v34, v12, s27, v85
	v_fma_f16 v124, v16, s21, v123
	v_add_f16_e32 v33, v34, v33
	v_fma_f16 v34, v14, s35, v86
	v_add_f16_e32 v119, v124, v119
	v_mul_f16_sdwa v124, v19, s20 dst_sel:DWORD dst_unused:UNUSED_PAD src0_sel:WORD_1 src1_sel:DWORD
	v_add_f16_e32 v33, v34, v33
	v_fma_f16 v34, v16, s28, v87
	v_fma_f16 v125, v15, s14, v124
	v_add_f16_e32 v33, v34, v33
	;; [unrolled: 7-line block ×3, first 2 shown]
	v_fma_f16 v34, v9, s7, v90
	v_add_f16_e32 v119, v126, v119
	v_mul_f16_sdwa v126, v17, s15 dst_sel:DWORD dst_unused:UNUSED_PAD src0_sel:WORD_1 src1_sel:DWORD
	v_add_f16_e32 v33, v34, v33
	v_fma_f16 v34, v26, s18, -v91
	v_fma_f16 v127, v9, s24, v126
	v_add_f16_e32 v34, v7, v34
	v_fma_f16 v36, v24, s33, -v93
	v_add_f16_e32 v119, v127, v119
	v_mul_f16_sdwa v127, v8, s23 dst_sel:DWORD dst_unused:UNUSED_PAD src0_sel:WORD_1 src1_sel:DWORD
	v_add_f16_e32 v34, v36, v34
	v_fma_f16 v36, v22, s20, -v94
	v_fma_f16 v128, v26, s16, v127
	v_mul_f16_sdwa v129, v10, s26 dst_sel:DWORD dst_unused:UNUSED_PAD src0_sel:WORD_1 src1_sel:DWORD
	v_add_f16_e32 v34, v36, v34
	v_fma_f16 v36, v21, s15, -v95
	v_add_f16_e32 v128, v7, v128
	v_fma_f16 v130, v24, s18, v129
	v_add_f16_e32 v34, v36, v34
	v_fma_f16 v36, v20, s17, -v96
	v_add_f16_e32 v128, v130, v128
	v_mul_f16_sdwa v130, v12, s19 dst_sel:DWORD dst_unused:UNUSED_PAD src0_sel:WORD_1 src1_sel:DWORD
	v_add_f16_e32 v34, v36, v34
	v_fma_f16 v36, v19, s25, -v97
	v_fma_f16 v131, v22, s22, v130
	v_add_f16_e32 v34, v36, v34
	v_fma_f16 v36, v18, s22, -v98
	v_add_f16_e32 v128, v131, v128
	v_mul_f16_sdwa v131, v14, s30 dst_sel:DWORD dst_unused:UNUSED_PAD src0_sel:WORD_1 src1_sel:DWORD
	v_add_f16_e32 v34, v36, v34
	v_fma_f16 v36, v17, s16, -v99
	v_fma_f16 v132, v21, s33, v131
	v_add_f16_e32 v34, v36, v34
	v_fma_f16 v36, v8, s28, v100
	v_add_f16_e32 v128, v132, v128
	v_mul_f16_sdwa v132, v16, s29 dst_sel:DWORD dst_unused:UNUSED_PAD src0_sel:WORD_1 src1_sel:DWORD
	v_add_f16_sdwa v36, v7, v36 dst_sel:DWORD dst_unused:UNUSED_PAD src0_sel:WORD_1 src1_sel:DWORD
	v_fma_f16 v37, v10, s19, v102
	v_fma_f16 v133, v20, s25, v132
	v_add_f16_e32 v36, v37, v36
	v_fma_f16 v37, v12, s34, v103
	v_add_f16_e32 v128, v133, v128
	v_mul_f16_sdwa v133, v15, s27 dst_sel:DWORD dst_unused:UNUSED_PAD src0_sel:WORD_1 src1_sel:DWORD
	v_add_f16_e32 v36, v37, v36
	v_fma_f16 v37, v14, s27, v104
	v_fma_f16 v134, v19, s20, v133
	v_add_f16_e32 v36, v37, v36
	v_fma_f16 v37, v16, s7, v105
	v_add_f16_e32 v128, v134, v128
	v_mul_f16_sdwa v134, v11, s8 dst_sel:DWORD dst_unused:UNUSED_PAD src0_sel:WORD_1 src1_sel:DWORD
	v_add_f16_e32 v36, v37, v36
	v_fma_f16 v37, v15, s24, v106
	v_fma_f16 v135, v18, s17, v134
	v_add_f16_e32 v36, v37, v36
	v_fma_f16 v37, v11, s26, v107
	v_add_f16_e32 v128, v135, v128
	v_mul_f16_sdwa v135, v9, s35 dst_sel:DWORD dst_unused:UNUSED_PAD src0_sel:WORD_1 src1_sel:DWORD
	v_add_f16_e32 v36, v37, v36
	v_fma_f16 v37, v9, s21, v108
	v_fma_f16 v136, v17, s15, v135
	v_add_f16_e32 v36, v37, v36
	v_fma_f16 v37, v26, s17, -v109
	v_add_f16_e32 v128, v136, v128
	v_pk_mul_f16 v136, v8, s24 op_sel_hi:[1,0]
	v_add_f16_e32 v37, v7, v37
	v_fma_f16 v38, v24, s22, -v111
	v_pk_fma_f16 v137, v26, s15, v136 op_sel:[0,0,1] op_sel_hi:[1,0,0]
	v_pk_fma_f16 v136, v26, s15, v136 op_sel:[0,0,1] op_sel_hi:[1,0,0] neg_lo:[0,0,1] neg_hi:[0,0,1]
	v_pk_mul_f16 v139, v10, s23 op_sel_hi:[1,0]
	v_add_f16_e32 v37, v38, v37
	v_fma_f16 v38, v22, s33, -v112
	v_bfi_b32 v138, s6, v137, v136
	v_pk_fma_f16 v140, v24, s16, v139 op_sel:[0,0,1] op_sel_hi:[1,0,0]
	v_pk_fma_f16 v139, v24, s16, v139 op_sel:[0,0,1] op_sel_hi:[1,0,0] neg_lo:[0,0,1] neg_hi:[0,0,1]
	v_add_f16_e32 v37, v38, v37
	v_fma_f16 v38, v21, s20, -v113
	v_pk_add_f16 v138, v7, v138
	v_bfi_b32 v141, s6, v140, v139
	v_add_f16_e32 v37, v38, v37
	v_fma_f16 v38, v20, s16, -v114
	v_pk_add_f16 v138, v141, v138
	v_pk_mul_f16 v141, v12, s28 op_sel_hi:[1,0]
	v_add_f16_e32 v37, v38, v37
	v_fma_f16 v38, v19, s15, -v115
	v_pk_fma_f16 v142, v22, s17, v141 op_sel:[0,0,1] op_sel_hi:[1,0,0]
	v_pk_fma_f16 v141, v22, s17, v141 op_sel:[0,0,1] op_sel_hi:[1,0,0] neg_lo:[0,0,1] neg_hi:[0,0,1]
	v_add_f16_e32 v37, v38, v37
	v_fma_f16 v38, v18, s18, -v116
	v_bfi_b32 v143, s6, v142, v141
	v_add_f16_e32 v37, v38, v37
	v_fma_f16 v38, v17, s25, -v117
	v_pk_add_f16 v138, v143, v138
	v_pk_mul_f16 v143, v14, s26 op_sel_hi:[1,0]
	v_add_f16_e32 v37, v38, v37
	v_fma_f16 v38, v8, s23, v118
	v_pk_fma_f16 v144, v21, s18, v143 op_sel:[0,0,1] op_sel_hi:[1,0,0]
	v_pk_fma_f16 v143, v21, s18, v143 op_sel:[0,0,1] op_sel_hi:[1,0,0] neg_lo:[0,0,1] neg_hi:[0,0,1]
	v_add_f16_sdwa v38, v7, v38 dst_sel:DWORD dst_unused:UNUSED_PAD src0_sel:WORD_1 src1_sel:DWORD
	v_fma_f16 v42, v10, s26, v120
	v_bfi_b32 v145, s6, v144, v143
	v_add_f16_e32 v38, v42, v38
	v_fma_f16 v42, v12, s19, v121
	v_pk_add_f16 v138, v145, v138
	v_pk_mul_f16 v145, v16, s14 op_sel_hi:[1,0]
	v_add_f16_e32 v38, v42, v38
	v_fma_f16 v42, v14, s30, v122
	v_pk_fma_f16 v146, v20, s20, v145 op_sel:[0,0,1] op_sel_hi:[1,0,0]
	v_pk_fma_f16 v145, v20, s20, v145 op_sel:[0,0,1] op_sel_hi:[1,0,0] neg_lo:[0,0,1] neg_hi:[0,0,1]
	v_add_f16_e32 v38, v42, v38
	v_fma_f16 v42, v16, s29, v123
	v_bfi_b32 v147, s6, v146, v145
	v_add_f16_e32 v38, v42, v38
	v_fma_f16 v42, v15, s27, v124
	v_pk_add_f16 v138, v147, v138
	v_pk_mul_f16 v147, v15, s19 op_sel_hi:[1,0]
	v_add_f16_e32 v38, v42, v38
	v_fma_f16 v42, v11, s8, v125
	v_pk_fma_f16 v148, v19, s22, v147 op_sel:[0,0,1] op_sel_hi:[1,0,0]
	v_pk_fma_f16 v147, v19, s22, v147 op_sel:[0,0,1] op_sel_hi:[1,0,0] neg_lo:[0,0,1] neg_hi:[0,0,1]
	v_add_f16_e32 v38, v42, v38
	v_fma_f16 v42, v9, s35, v126
	v_bfi_b32 v149, s6, v148, v147
	v_add_f16_e32 v38, v42, v38
	v_fma_f16 v42, v26, s16, -v127
	v_pk_add_f16 v138, v149, v138
	v_pk_mul_f16 v149, v11, s21 op_sel_hi:[1,0]
	v_add_f16_e32 v42, v7, v42
	v_fma_f16 v43, v24, s18, -v129
	v_pk_fma_f16 v150, v18, s25, v149 op_sel:[0,0,1] op_sel_hi:[1,0,0]
	v_pk_fma_f16 v149, v18, s25, v149 op_sel:[0,0,1] op_sel_hi:[1,0,0] neg_lo:[0,0,1] neg_hi:[0,0,1]
	v_add_f16_e32 v42, v43, v42
	v_fma_f16 v43, v22, s22, -v130
	v_bfi_b32 v151, s6, v150, v149
	v_add_f16_e32 v42, v43, v42
	v_fma_f16 v43, v21, s33, -v131
	v_pk_add_f16 v138, v151, v138
	v_pk_mul_f16 v151, v9, s30 op_sel_hi:[1,0]
	v_add_f16_e32 v42, v43, v42
	v_fma_f16 v43, v20, s25, -v132
	v_pk_fma_f16 v152, v17, s33, v151 op_sel:[0,0,1] op_sel_hi:[1,0,0]
	v_pk_fma_f16 v151, v17, s33, v151 op_sel:[0,0,1] op_sel_hi:[1,0,0] neg_lo:[0,0,1] neg_hi:[0,0,1]
	v_add_u32_e32 v31, 17, v3
	v_add_f16_e32 v42, v43, v42
	v_fma_f16 v43, v19, s20, -v133
	v_bfi_b32 v153, s6, v152, v151
	v_mul_u32_u24_e32 v31, 0x44, v31
	v_add_f16_e32 v42, v43, v42
	v_fma_f16 v43, v18, s17, -v134
	v_pk_add_f16 v138, v153, v138
	v_add3_u32 v31, 0, v31, v40
	v_add_f16_e32 v42, v43, v42
	v_fma_f16 v43, v17, s15, -v135
	v_add_f16_e32 v42, v43, v42
	ds_write2_b32 v31, v28, v138 offset1:1
	v_pack_b32_f16 v28, v110, v101
	v_pack_b32_f16 v43, v128, v119
	ds_write2_b32 v31, v43, v28 offset0:2 offset1:3
	v_pack_b32_f16 v28, v74, v65
	v_pack_b32_f16 v43, v92, v83
	ds_write2_b32 v31, v43, v28 offset0:4 offset1:5
	;; [unrolled: 3-line block ×3, first 2 shown]
	v_pk_mul_f16 v23, v26, s33 op_sel_hi:[1,0]
	v_pk_fma_f16 v26, v8, s30, v23 op_sel:[0,0,1] op_sel_hi:[1,0,0]
	v_pk_mul_f16 v24, v24, s15 op_sel_hi:[1,0]
	v_alignbit_b32 v28, s0, v26, 16
	v_pk_fma_f16 v35, v10, s35, v24 op_sel:[0,0,1] op_sel_hi:[1,0,0]
	v_pk_add_f16 v28, v7, v28
	v_alignbit_b32 v43, s0, v35, 16
	v_pk_mul_f16 v22, v22, s25 op_sel_hi:[1,0]
	v_pk_add_f16 v28, v43, v28
	v_pk_fma_f16 v43, v12, s21, v22 op_sel:[0,0,1] op_sel_hi:[1,0,0]
	v_alignbit_b32 v44, s0, v43, 16
	v_pk_mul_f16 v21, v21, s16 op_sel_hi:[1,0]
	v_pk_add_f16 v28, v44, v28
	v_pk_fma_f16 v44, v14, s7, v21 op_sel:[0,0,1] op_sel_hi:[1,0,0]
	;; [unrolled: 4-line block ×6, first 2 shown]
	v_alignbit_b32 v49, s0, v48, 16
	v_pk_add_f16 v28, v49, v28
	v_alignbit_b32 v49, s0, v7, 16
	v_pk_fma_f16 v8, v8, s30, v23 op_sel:[0,0,1] op_sel_hi:[1,0,0] neg_lo:[1,0,0] neg_hi:[1,0,0]
	v_pk_add_f16 v26, v49, v26
	v_pk_add_f16 v8, v7, v8 op_sel:[1,0] op_sel_hi:[0,1]
	v_pk_fma_f16 v10, v10, s35, v24 op_sel:[0,0,1] op_sel_hi:[1,0,0] neg_lo:[1,0,0] neg_hi:[1,0,0]
	v_pk_add_f16 v26, v35, v26
	v_pk_add_f16 v8, v10, v8
	v_pk_fma_f16 v10, v12, s21, v22 op_sel:[0,0,1] op_sel_hi:[1,0,0] neg_lo:[1,0,0] neg_hi:[1,0,0]
	v_pk_add_f16 v26, v43, v26
	v_pk_add_f16 v8, v10, v8
	;; [unrolled: 3-line block ×7, first 2 shown]
	v_alignbit_b32 v9, v26, v8, 16
	v_pack_b32_f16 v8, v28, v8
	ds_write2_b32 v31, v8, v9 offset0:8 offset1:9
	v_pack_b32_f16 v8, v29, v27
	v_pack_b32_f16 v9, v25, v13
	ds_write2_b32 v31, v9, v8 offset0:10 offset1:11
	v_pack_b32_f16 v8, v34, v33
	;; [unrolled: 3-line block ×3, first 2 shown]
	v_pack_b32_f16 v9, v37, v36
	ds_write2_b32 v31, v9, v8 offset0:14 offset1:15
	v_bfi_b32 v8, s6, v136, v137
	v_pk_add_f16 v7, v7, v8
	v_bfi_b32 v8, s6, v139, v140
	v_pk_add_f16 v7, v8, v7
	;; [unrolled: 2-line block ×8, first 2 shown]
	ds_write_b32 v31, v7 offset:64
.LBB0_20:
	s_or_b64 exec, exec, s[4:5]
	v_lshlrev_b32_e32 v7, 1, v3
	v_mov_b32_e32 v8, 0
	v_lshlrev_b64 v[12:13], 2, v[7:8]
	v_mov_b32_e32 v7, s13
	v_add_co_u32_e64 v12, s[0:1], s12, v12
	v_addc_co_u32_e64 v13, s[0:1], v7, v13, s[0:1]
	s_waitcnt lgkmcnt(0)
	; wave barrier
	s_waitcnt lgkmcnt(0)
	global_load_dwordx2 v[12:13], v[12:13], off
	v_add_u16_e32 v18, 34, v3
	s_movk_i32 s0, 0xf1
	v_mul_lo_u16_sdwa v19, v18, s0 dst_sel:DWORD dst_unused:UNUSED_PAD src0_sel:BYTE_0 src1_sel:DWORD
	v_lshrrev_b16_e32 v19, 12, v19
	v_mul_lo_u16_e32 v19, 17, v19
	v_sub_u16_e32 v54, v18, v19
	v_mov_b32_e32 v32, 3
	v_add_u16_e32 v22, 51, v3
	v_add_u32_e32 v9, 0x200, v4
	v_lshlrev_b32_sdwa v18, v32, v54 dst_sel:DWORD dst_unused:UNUSED_PAD src0_sel:DWORD src1_sel:BYTE_0
	v_mul_lo_u16_sdwa v23, v22, s0 dst_sel:DWORD dst_unused:UNUSED_PAD src0_sel:BYTE_0 src1_sel:DWORD
	ds_read2_b32 v[10:11], v4 offset0:119 offset1:136
	ds_read_b32 v7, v39
	ds_read2_b32 v[14:15], v9 offset0:127 offset1:144
	ds_read2_b32 v[16:17], v4 offset0:17 offset1:34
	ds_read_b32 v38, v4 offset:1564
	global_load_dwordx2 v[18:19], v18, s[12:13]
	v_lshrrev_b16_e32 v23, 12, v23
	v_mul_lo_u16_e32 v23, 17, v23
	v_sub_u16_e32 v55, v22, v23
	v_add_u16_e32 v24, 0x44, v3
	v_lshlrev_b32_sdwa v22, v32, v55 dst_sel:DWORD dst_unused:UNUSED_PAD src0_sel:DWORD src1_sel:BYTE_0
	global_load_dwordx2 v[22:23], v22, s[12:13]
	v_mul_lo_u16_sdwa v25, v24, s0 dst_sel:DWORD dst_unused:UNUSED_PAD src0_sel:BYTE_0 src1_sel:DWORD
	v_lshrrev_b16_e32 v25, 12, v25
	v_mul_lo_u16_e32 v25, 17, v25
	v_sub_u16_e32 v57, v24, v25
	v_add_u16_e32 v28, 0x55, v3
	v_lshlrev_b32_sdwa v24, v32, v57 dst_sel:DWORD dst_unused:UNUSED_PAD src0_sel:DWORD src1_sel:BYTE_0
	global_load_dwordx2 v[24:25], v24, s[12:13]
	v_mul_lo_u16_sdwa v29, v28, s0 dst_sel:DWORD dst_unused:UNUSED_PAD src0_sel:BYTE_0 src1_sel:DWORD
	;; [unrolled: 7-line block ×3, first 2 shown]
	v_lshrrev_b16_e32 v31, 12, v31
	v_mul_lo_u16_e32 v31, 17, v31
	v_sub_u16_e32 v60, v30, v31
	v_add_u16_e32 v33, 0x77, v3
	v_lshlrev_b32_sdwa v30, v32, v60 dst_sel:DWORD dst_unused:UNUSED_PAD src0_sel:DWORD src1_sel:BYTE_0
	v_mul_lo_u16_sdwa v34, v33, s0 dst_sel:DWORD dst_unused:UNUSED_PAD src0_sel:BYTE_0 src1_sel:DWORD
	global_load_dwordx2 v[30:31], v30, s[12:13]
	v_lshrrev_b16_e32 v34, 12, v34
	v_mul_lo_u16_e32 v34, 17, v34
	v_sub_u16_e32 v62, v33, v34
	v_lshlrev_b32_sdwa v32, v32, v62 dst_sel:DWORD dst_unused:UNUSED_PAD src0_sel:DWORD src1_sel:BYTE_0
	global_load_dwordx2 v[32:33], v32, s[12:13]
	ds_read2_b32 v[20:21], v4 offset0:153 offset1:170
	s_waitcnt lgkmcnt(5)
	v_lshrrev_b32_e32 v51, 16, v11
	ds_read2_b32 v[26:27], v41 offset0:33 offset1:50
	s_waitcnt lgkmcnt(4)
	v_lshrrev_b32_e32 v52, 16, v15
	ds_read2_b32 v[34:35], v4 offset0:51 offset1:68
	ds_read2_b32 v[36:37], v4 offset0:187 offset1:204
	;; [unrolled: 1-line block ×3, first 2 shown]
	s_waitcnt lgkmcnt(4)
	v_lshrrev_b32_e32 v56, 16, v20
	v_lshrrev_b32_e32 v63, 16, v21
	s_waitcnt lgkmcnt(3)
	v_lshrrev_b32_e32 v59, 16, v26
	v_lshrrev_b32_e32 v64, 16, v27
	s_waitcnt lgkmcnt(1)
	v_lshrrev_b32_e32 v66, 16, v36
	s_waitcnt lgkmcnt(0)
	v_lshrrev_b32_e32 v67, 16, v42
	ds_read2_b32 v[44:45], v4 offset0:85 offset1:102
	ds_read2_b32 v[46:47], v4 offset0:221 offset1:238
	;; [unrolled: 1-line block ×3, first 2 shown]
	v_lshrrev_b32_e32 v69, 16, v37
	v_lshrrev_b32_e32 v70, 16, v43
	;; [unrolled: 1-line block ×3, first 2 shown]
	s_waitcnt lgkmcnt(1)
	v_lshrrev_b32_e32 v72, 16, v46
	s_waitcnt lgkmcnt(0)
	v_lshrrev_b32_e32 v73, 16, v48
	v_lshrrev_b32_e32 v75, 16, v47
	;; [unrolled: 1-line block ×5, first 2 shown]
	s_mov_b32 s0, 0xbaee
	s_movk_i32 s1, 0x3aee
	v_lshrrev_b32_e32 v53, 16, v16
	v_lshrrev_b32_e32 v61, 16, v17
	;; [unrolled: 1-line block ×7, first 2 shown]
	s_waitcnt vmcnt(6)
	v_mul_f16_sdwa v80, v51, v12 dst_sel:DWORD dst_unused:UNUSED_PAD src0_sel:DWORD src1_sel:WORD_1
	v_fma_f16 v80, v11, v12, v80
	v_mul_f16_sdwa v11, v11, v12 dst_sel:DWORD dst_unused:UNUSED_PAD src0_sel:DWORD src1_sel:WORD_1
	v_fma_f16 v11, v51, v12, -v11
	v_mul_f16_sdwa v51, v52, v13 dst_sel:DWORD dst_unused:UNUSED_PAD src0_sel:DWORD src1_sel:WORD_1
	v_fma_f16 v51, v15, v13, v51
	v_mul_f16_sdwa v15, v15, v13 dst_sel:DWORD dst_unused:UNUSED_PAD src0_sel:DWORD src1_sel:WORD_1
	v_fma_f16 v15, v52, v13, -v15
	;; [unrolled: 4-line block ×4, first 2 shown]
	s_waitcnt vmcnt(5)
	v_mul_f16_sdwa v26, v63, v18 dst_sel:DWORD dst_unused:UNUSED_PAD src0_sel:DWORD src1_sel:WORD_1
	v_fma_f16 v26, v21, v18, v26
	v_mul_f16_sdwa v21, v21, v18 dst_sel:DWORD dst_unused:UNUSED_PAD src0_sel:DWORD src1_sel:WORD_1
	v_fma_f16 v18, v63, v18, -v21
	v_mul_f16_sdwa v21, v64, v19 dst_sel:DWORD dst_unused:UNUSED_PAD src0_sel:DWORD src1_sel:WORD_1
	v_fma_f16 v21, v27, v19, v21
	v_mul_f16_sdwa v27, v27, v19 dst_sel:DWORD dst_unused:UNUSED_PAD src0_sel:DWORD src1_sel:WORD_1
	v_fma_f16 v19, v64, v19, -v27
	s_waitcnt vmcnt(4)
	v_mul_f16_sdwa v27, v66, v22 dst_sel:DWORD dst_unused:UNUSED_PAD src0_sel:DWORD src1_sel:WORD_1
	v_fma_f16 v27, v36, v22, v27
	v_mul_f16_sdwa v36, v36, v22 dst_sel:DWORD dst_unused:UNUSED_PAD src0_sel:DWORD src1_sel:WORD_1
	v_fma_f16 v22, v66, v22, -v36
	v_mul_f16_sdwa v36, v67, v23 dst_sel:DWORD dst_unused:UNUSED_PAD src0_sel:DWORD src1_sel:WORD_1
	v_fma_f16 v36, v42, v23, v36
	v_mul_f16_sdwa v42, v42, v23 dst_sel:DWORD dst_unused:UNUSED_PAD src0_sel:DWORD src1_sel:WORD_1
	v_fma_f16 v23, v67, v23, -v42
	;; [unrolled: 9-line block ×5, first 2 shown]
	s_waitcnt vmcnt(0)
	v_mul_f16_sdwa v49, v78, v32 dst_sel:DWORD dst_unused:UNUSED_PAD src0_sel:DWORD src1_sel:WORD_1
	v_fma_f16 v49, v14, v32, v49
	v_mul_f16_sdwa v14, v14, v32 dst_sel:DWORD dst_unused:UNUSED_PAD src0_sel:DWORD src1_sel:WORD_1
	v_fma_f16 v14, v78, v32, -v14
	v_mul_f16_sdwa v32, v79, v33 dst_sel:DWORD dst_unused:UNUSED_PAD src0_sel:DWORD src1_sel:WORD_1
	v_fma_f16 v32, v38, v33, v32
	v_mul_f16_sdwa v38, v38, v33 dst_sel:DWORD dst_unused:UNUSED_PAD src0_sel:DWORD src1_sel:WORD_1
	v_add_f16_e32 v56, v80, v51
	v_fma_f16 v33, v79, v33, -v38
	v_add_f16_e32 v38, v7, v80
	v_fma_f16 v7, v56, -0.5, v7
	v_sub_f16_e32 v56, v11, v15
	v_fma_f16 v59, v56, s0, v7
	v_fma_f16 v7, v56, s1, v7
	v_add_f16_e32 v56, v50, v11
	v_add_f16_e32 v11, v11, v15
	;; [unrolled: 1-line block ×4, first 2 shown]
	v_fma_f16 v11, v11, -0.5, v50
	v_sub_f16_e32 v15, v80, v51
	v_add_f16_e32 v51, v52, v20
	v_fma_f16 v50, v15, s1, v11
	v_fma_f16 v11, v15, s0, v11
	v_add_f16_e32 v15, v16, v52
	v_fma_f16 v16, v51, -0.5, v16
	v_sub_f16_e32 v51, v12, v13
	v_fma_f16 v63, v51, s0, v16
	v_fma_f16 v16, v51, s1, v16
	v_add_f16_e32 v51, v53, v12
	v_add_f16_e32 v12, v12, v13
	;; [unrolled: 1-line block ×3, first 2 shown]
	v_fma_f16 v12, v12, -0.5, v53
	v_sub_f16_e32 v13, v52, v20
	v_add_f16_e32 v52, v26, v21
	v_add_f16_e32 v15, v15, v20
	v_fma_f16 v20, v13, s1, v12
	v_fma_f16 v12, v13, s0, v12
	v_add_f16_e32 v13, v17, v26
	v_fma_f16 v17, v52, -0.5, v17
	v_sub_f16_e32 v52, v18, v19
	v_fma_f16 v53, v52, s0, v17
	v_fma_f16 v17, v52, s1, v17
	v_add_f16_e32 v52, v61, v18
	v_add_f16_e32 v18, v18, v19
	;; [unrolled: 1-line block ×3, first 2 shown]
	v_fma_f16 v18, v18, -0.5, v61
	v_sub_f16_e32 v19, v26, v21
	v_add_f16_e32 v26, v27, v36
	v_add_f16_e32 v13, v13, v21
	v_fma_f16 v21, v19, s1, v18
	v_fma_f16 v18, v19, s0, v18
	v_add_f16_e32 v19, v34, v27
	v_fma_f16 v26, v26, -0.5, v34
	v_sub_f16_e32 v34, v22, v23
	v_fma_f16 v61, v34, s0, v26
	v_fma_f16 v26, v34, s1, v26
	v_add_f16_e32 v34, v65, v22
	v_add_f16_e32 v22, v22, v23
	;; [unrolled: 1-line block ×4, first 2 shown]
	v_fma_f16 v22, v22, -0.5, v65
	v_sub_f16_e32 v23, v27, v36
	v_add_f16_e32 v36, v42, v37
	v_fma_f16 v27, v23, s1, v22
	v_fma_f16 v22, v23, s0, v22
	v_add_f16_e32 v23, v35, v42
	v_fma_f16 v35, v36, -0.5, v35
	v_sub_f16_e32 v36, v24, v25
	v_fma_f16 v64, v36, s0, v35
	v_fma_f16 v35, v36, s1, v35
	v_add_f16_e32 v36, v68, v24
	v_add_f16_e32 v24, v24, v25
	;; [unrolled: 1-line block ×3, first 2 shown]
	v_fma_f16 v24, v24, -0.5, v68
	v_sub_f16_e32 v25, v42, v37
	v_add_f16_e32 v42, v43, v46
	v_add_f16_e32 v23, v23, v37
	v_fma_f16 v37, v25, s1, v24
	v_fma_f16 v24, v25, s0, v24
	v_add_f16_e32 v25, v44, v43
	v_fma_f16 v42, v42, -0.5, v44
	v_sub_f16_e32 v44, v28, v29
	v_fma_f16 v65, v44, s0, v42
	v_fma_f16 v42, v44, s1, v42
	v_add_f16_e32 v44, v71, v28
	v_add_f16_e32 v28, v28, v29
	;; [unrolled: 1-line block ×4, first 2 shown]
	v_fma_f16 v28, v28, -0.5, v71
	v_sub_f16_e32 v29, v43, v46
	v_add_f16_e32 v46, v48, v47
	v_fma_f16 v43, v29, s1, v28
	v_fma_f16 v28, v29, s0, v28
	v_add_f16_e32 v29, v45, v48
	v_fma_f16 v45, v46, -0.5, v45
	v_sub_f16_e32 v46, v30, v31
	v_fma_f16 v66, v46, s0, v45
	v_fma_f16 v45, v46, s1, v45
	v_add_f16_e32 v46, v74, v30
	v_add_f16_e32 v30, v30, v31
	;; [unrolled: 1-line block ×3, first 2 shown]
	v_fma_f16 v30, v30, -0.5, v74
	v_sub_f16_e32 v31, v48, v47
	v_add_f16_e32 v48, v49, v32
	v_pack_b32_f16 v7, v7, v11
	v_pack_b32_f16 v11, v15, v51
	v_add_f16_e32 v29, v29, v47
	v_fma_f16 v47, v31, s1, v30
	v_fma_f16 v30, v31, s0, v30
	v_add_f16_e32 v31, v10, v49
	v_fma_f16 v10, v48, -0.5, v10
	v_sub_f16_e32 v48, v14, v33
	; wave barrier
	ds_write2_b32 v4, v7, v11 offset0:34 offset1:51
	v_pack_b32_f16 v7, v63, v20
	v_pack_b32_f16 v11, v16, v12
	v_fma_f16 v67, v48, s0, v10
	v_fma_f16 v10, v48, s1, v10
	v_add_f16_e32 v48, v77, v14
	v_add_f16_e32 v14, v14, v33
	ds_write2_b32 v4, v7, v11 offset0:68 offset1:85
	v_mov_b32_e32 v7, 2
	v_add_f16_e32 v31, v31, v32
	v_fma_f16 v14, v14, -0.5, v77
	v_sub_f16_e32 v32, v49, v32
	v_lshlrev_b32_sdwa v11, v7, v54 dst_sel:DWORD dst_unused:UNUSED_PAD src0_sel:DWORD src1_sel:BYTE_0
	v_add_f16_e32 v48, v48, v33
	v_fma_f16 v33, v32, s1, v14
	v_fma_f16 v14, v32, s0, v14
	v_pack_b32_f16 v32, v38, v56
	v_pack_b32_f16 v38, v59, v50
	v_add3_u32 v11, 0, v11, v40
	v_pack_b32_f16 v12, v13, v52
	v_pack_b32_f16 v13, v53, v21
	ds_write2_b32 v4, v32, v38 offset1:17
	ds_write2_b32 v11, v12, v13 offset0:102 offset1:119
	v_pack_b32_f16 v12, v17, v18
	ds_write_b32 v11, v12 offset:544
	v_lshlrev_b32_sdwa v11, v7, v55 dst_sel:DWORD dst_unused:UNUSED_PAD src0_sel:DWORD src1_sel:BYTE_0
	v_add3_u32 v11, 0, v11, v40
	v_pack_b32_f16 v12, v19, v34
	v_pack_b32_f16 v13, v61, v27
	ds_write2_b32 v11, v12, v13 offset0:153 offset1:170
	v_pack_b32_f16 v12, v26, v22
	ds_write_b32 v11, v12 offset:748
	v_lshlrev_b32_sdwa v11, v7, v57 dst_sel:DWORD dst_unused:UNUSED_PAD src0_sel:DWORD src1_sel:BYTE_0
	v_add3_u32 v11, 0, v11, v40
	v_pack_b32_f16 v12, v23, v36
	v_pack_b32_f16 v13, v64, v37
	;; [unrolled: 7-line block ×3, first 2 shown]
	v_add_u32_e32 v15, 0x200, v11
	ds_write2_b32 v15, v12, v13 offset0:127 offset1:144
	v_pack_b32_f16 v12, v42, v28
	ds_write_b32 v11, v12 offset:1156
	v_lshlrev_b32_sdwa v11, v7, v60 dst_sel:DWORD dst_unused:UNUSED_PAD src0_sel:DWORD src1_sel:BYTE_0
	v_add3_u32 v11, 0, v11, v40
	v_lshlrev_b32_sdwa v7, v7, v62 dst_sel:DWORD dst_unused:UNUSED_PAD src0_sel:DWORD src1_sel:BYTE_0
	v_pack_b32_f16 v12, v29, v46
	v_pack_b32_f16 v13, v66, v47
	v_add_u32_e32 v15, 0x400, v11
	v_add3_u32 v7, 0, v7, v40
	v_pack_b32_f16 v10, v10, v14
	ds_write2_b32 v15, v12, v13 offset0:50 offset1:67
	v_pack_b32_f16 v12, v45, v30
	v_add_u32_e32 v13, 0x400, v7
	ds_write_b32 v7, v10 offset:1564
	v_mul_u32_u24_e32 v7, 7, v3
	ds_write_b32 v11, v12 offset:1360
	v_pack_b32_f16 v11, v31, v48
	v_pack_b32_f16 v12, v67, v33
	v_lshlrev_b32_e32 v7, 2, v7
	ds_write2_b32 v13, v11, v12 offset0:101 offset1:118
	s_waitcnt lgkmcnt(0)
	; wave barrier
	s_waitcnt lgkmcnt(0)
	global_load_dwordx4 v[10:13], v7, s[12:13] offset:136
	global_load_dwordx3 v[22:24], v7, s[12:13] offset:152
	global_load_dwordx4 v[14:17], v7, s[12:13] offset:612
	ds_read2_b32 v[31:32], v4 offset0:51 offset1:68
	ds_read2_b32 v[33:34], v4 offset0:85 offset1:102
	global_load_dwordx3 v[25:27], v7, s[12:13] offset:628
	ds_read2_b32 v[35:36], v9 offset0:127 offset1:144
	ds_read2_b32 v[37:38], v41 offset0:33 offset1:50
	;; [unrolled: 1-line block ×8, first 2 shown]
	global_load_dwordx4 v[18:21], v7, s[12:13] offset:1088
	ds_read2_b32 v[54:55], v41 offset0:67 offset1:84
	ds_read_b32 v39, v39
	ds_read_u16 v68, v4 offset:818
	ds_read_b32 v69, v4 offset:1564
	global_load_dwordx3 v[28:30], v7, s[12:13] offset:1104
	s_waitcnt lgkmcnt(13)
	v_lshrrev_b32_e32 v73, 16, v31
	s_waitcnt lgkmcnt(11)
	v_lshrrev_b32_e32 v9, 16, v35
	s_waitcnt lgkmcnt(10)
	v_lshrrev_b32_e32 v40, 16, v38
	s_waitcnt lgkmcnt(9)
	v_lshrrev_b32_e32 v56, 16, v42
	v_lshrrev_b32_e32 v57, 16, v32
	s_waitcnt lgkmcnt(5)
	v_lshrrev_b32_e32 v58, 16, v50
	v_lshrrev_b32_e32 v59, 16, v45
	s_waitcnt lgkmcnt(4)
	v_lshrrev_b32_e32 v60, 16, v52
	;; [unrolled: 3-line block ×3, first 2 shown]
	v_lshrrev_b32_e32 v63, 16, v43
	v_lshrrev_b32_e32 v65, 16, v33
	;; [unrolled: 1-line block ×7, first 2 shown]
	s_waitcnt lgkmcnt(0)
	v_lshrrev_b32_e32 v72, 16, v69
	s_mov_b32 s0, 0xb9a8
	s_movk_i32 s1, 0x39a8
	v_lshrrev_b32_e32 v64, 16, v49
	s_waitcnt lgkmcnt(0)
	; wave barrier
	s_waitcnt vmcnt(5)
	v_mul_f16_sdwa v74, v10, v73 dst_sel:DWORD dst_unused:UNUSED_PAD src0_sel:WORD_1 src1_sel:DWORD
	v_fma_f16 v74, v10, v31, v74
	v_mul_f16_sdwa v31, v10, v31 dst_sel:DWORD dst_unused:UNUSED_PAD src0_sel:WORD_1 src1_sel:DWORD
	v_fma_f16 v10, v10, v73, -v31
	v_lshrrev_b32_e32 v31, 16, v34
	v_mul_f16_sdwa v73, v11, v31 dst_sel:DWORD dst_unused:UNUSED_PAD src0_sel:WORD_1 src1_sel:DWORD
	v_fma_f16 v73, v11, v34, v73
	v_mul_f16_sdwa v34, v11, v34 dst_sel:DWORD dst_unused:UNUSED_PAD src0_sel:WORD_1 src1_sel:DWORD
	v_fma_f16 v11, v11, v31, -v34
	v_lshrrev_b32_e32 v31, 16, v44
	v_mul_f16_sdwa v34, v12, v31 dst_sel:DWORD dst_unused:UNUSED_PAD src0_sel:WORD_1 src1_sel:DWORD
	v_fma_f16 v34, v12, v44, v34
	v_mul_f16_sdwa v44, v12, v44 dst_sel:DWORD dst_unused:UNUSED_PAD src0_sel:WORD_1 src1_sel:DWORD
	v_fma_f16 v12, v12, v31, -v44
	v_mul_f16_sdwa v31, v68, v13 dst_sel:DWORD dst_unused:UNUSED_PAD src0_sel:DWORD src1_sel:WORD_1
	v_mul_f16_sdwa v44, v13, v47 dst_sel:DWORD dst_unused:UNUSED_PAD src0_sel:WORD_1 src1_sel:DWORD
	v_fma_f16 v31, v13, v47, v31
	v_fma_f16 v13, v68, v13, -v44
	s_waitcnt vmcnt(4)
	v_mul_f16_sdwa v44, v9, v22 dst_sel:DWORD dst_unused:UNUSED_PAD src0_sel:DWORD src1_sel:WORD_1
	v_fma_f16 v44, v35, v22, v44
	v_mul_f16_sdwa v35, v35, v22 dst_sel:DWORD dst_unused:UNUSED_PAD src0_sel:DWORD src1_sel:WORD_1
	v_fma_f16 v9, v9, v22, -v35
	v_mul_f16_sdwa v22, v40, v23 dst_sel:DWORD dst_unused:UNUSED_PAD src0_sel:DWORD src1_sel:WORD_1
	v_mul_f16_sdwa v35, v38, v23 dst_sel:DWORD dst_unused:UNUSED_PAD src0_sel:DWORD src1_sel:WORD_1
	v_fma_f16 v22, v38, v23, v22
	v_fma_f16 v23, v40, v23, -v35
	v_mul_f16_sdwa v35, v56, v24 dst_sel:DWORD dst_unused:UNUSED_PAD src0_sel:DWORD src1_sel:WORD_1
	v_mul_f16_sdwa v38, v42, v24 dst_sel:DWORD dst_unused:UNUSED_PAD src0_sel:DWORD src1_sel:WORD_1
	v_fma_f16 v35, v42, v24, v35
	v_fma_f16 v24, v56, v24, -v38
	s_waitcnt vmcnt(3)
	v_mul_f16_sdwa v38, v57, v14 dst_sel:DWORD dst_unused:UNUSED_PAD src0_sel:DWORD src1_sel:WORD_1
	v_fma_f16 v38, v32, v14, v38
	v_mul_f16_sdwa v32, v32, v14 dst_sel:DWORD dst_unused:UNUSED_PAD src0_sel:DWORD src1_sel:WORD_1
	v_fma_f16 v14, v57, v14, -v32
	v_mul_f16_sdwa v32, v58, v15 dst_sel:DWORD dst_unused:UNUSED_PAD src0_sel:DWORD src1_sel:WORD_1
	v_mul_f16_sdwa v40, v50, v15 dst_sel:DWORD dst_unused:UNUSED_PAD src0_sel:DWORD src1_sel:WORD_1
	v_fma_f16 v32, v50, v15, v32
	v_fma_f16 v15, v58, v15, -v40
	v_mul_f16_sdwa v40, v59, v16 dst_sel:DWORD dst_unused:UNUSED_PAD src0_sel:DWORD src1_sel:WORD_1
	v_mul_f16_sdwa v42, v45, v16 dst_sel:DWORD dst_unused:UNUSED_PAD src0_sel:DWORD src1_sel:WORD_1
	v_fma_f16 v40, v45, v16, v40
	;; [unrolled: 4-line block ×3, first 2 shown]
	v_fma_f16 v17, v60, v17, -v45
	s_waitcnt vmcnt(2)
	v_mul_f16_sdwa v45, v61, v25 dst_sel:DWORD dst_unused:UNUSED_PAD src0_sel:DWORD src1_sel:WORD_1
	v_fma_f16 v45, v36, v25, v45
	v_mul_f16_sdwa v36, v36, v25 dst_sel:DWORD dst_unused:UNUSED_PAD src0_sel:DWORD src1_sel:WORD_1
	v_fma_f16 v25, v61, v25, -v36
	v_mul_f16_sdwa v36, v62, v26 dst_sel:DWORD dst_unused:UNUSED_PAD src0_sel:DWORD src1_sel:WORD_1
	v_mul_f16_sdwa v47, v54, v26 dst_sel:DWORD dst_unused:UNUSED_PAD src0_sel:DWORD src1_sel:WORD_1
	v_fma_f16 v36, v54, v26, v36
	v_fma_f16 v26, v62, v26, -v47
	v_mul_f16_sdwa v47, v63, v27 dst_sel:DWORD dst_unused:UNUSED_PAD src0_sel:DWORD src1_sel:WORD_1
	v_fma_f16 v47, v43, v27, v47
	v_mul_f16_sdwa v43, v43, v27 dst_sel:DWORD dst_unused:UNUSED_PAD src0_sel:DWORD src1_sel:WORD_1
	v_fma_f16 v27, v63, v27, -v43
	s_waitcnt vmcnt(1)
	v_mul_f16_sdwa v43, v65, v18 dst_sel:DWORD dst_unused:UNUSED_PAD src0_sel:DWORD src1_sel:WORD_1
	v_fma_f16 v43, v33, v18, v43
	v_mul_f16_sdwa v33, v33, v18 dst_sel:DWORD dst_unused:UNUSED_PAD src0_sel:DWORD src1_sel:WORD_1
	v_fma_f16 v18, v65, v18, -v33
	v_mul_f16_sdwa v33, v66, v19 dst_sel:DWORD dst_unused:UNUSED_PAD src0_sel:DWORD src1_sel:WORD_1
	v_mul_f16_sdwa v50, v51, v19 dst_sel:DWORD dst_unused:UNUSED_PAD src0_sel:DWORD src1_sel:WORD_1
	v_fma_f16 v33, v51, v19, v33
	v_fma_f16 v19, v66, v19, -v50
	v_mul_f16_sdwa v50, v67, v20 dst_sel:DWORD dst_unused:UNUSED_PAD src0_sel:DWORD src1_sel:WORD_1
	v_fma_f16 v50, v46, v20, v50
	v_mul_f16_sdwa v46, v46, v20 dst_sel:DWORD dst_unused:UNUSED_PAD src0_sel:DWORD src1_sel:WORD_1
	v_fma_f16 v20, v67, v20, -v46
	v_mul_f16_sdwa v46, v7, v21 dst_sel:DWORD dst_unused:UNUSED_PAD src0_sel:DWORD src1_sel:WORD_1
	v_mul_f16_sdwa v51, v53, v21 dst_sel:DWORD dst_unused:UNUSED_PAD src0_sel:DWORD src1_sel:WORD_1
	v_fma_f16 v46, v53, v21, v46
	v_fma_f16 v7, v7, v21, -v51
	s_waitcnt vmcnt(0)
	v_mul_f16_sdwa v21, v70, v28 dst_sel:DWORD dst_unused:UNUSED_PAD src0_sel:DWORD src1_sel:WORD_1
	v_fma_f16 v21, v37, v28, v21
	v_mul_f16_sdwa v37, v37, v28 dst_sel:DWORD dst_unused:UNUSED_PAD src0_sel:DWORD src1_sel:WORD_1
	v_fma_f16 v28, v70, v28, -v37
	v_mul_f16_sdwa v37, v71, v29 dst_sel:DWORD dst_unused:UNUSED_PAD src0_sel:DWORD src1_sel:WORD_1
	v_mul_f16_sdwa v51, v55, v29 dst_sel:DWORD dst_unused:UNUSED_PAD src0_sel:DWORD src1_sel:WORD_1
	v_fma_f16 v37, v55, v29, v37
	v_fma_f16 v29, v71, v29, -v51
	v_mul_f16_sdwa v51, v72, v30 dst_sel:DWORD dst_unused:UNUSED_PAD src0_sel:DWORD src1_sel:WORD_1
	v_mul_f16_sdwa v52, v69, v30 dst_sel:DWORD dst_unused:UNUSED_PAD src0_sel:DWORD src1_sel:WORD_1
	v_fma_f16 v51, v69, v30, v51
	v_fma_f16 v30, v72, v30, -v52
	v_lshrrev_b32_e32 v52, 16, v39
	v_sub_f16_e32 v31, v39, v31
	v_sub_f16_e32 v23, v11, v23
	;; [unrolled: 1-line block ×6, first 2 shown]
	v_fma_f16 v11, v11, 2.0, -v23
	v_sub_f16_e32 v9, v10, v9
	v_sub_f16_e32 v35, v34, v35
	v_fma_f16 v12, v12, 2.0, -v24
	v_add_f16_e32 v23, v31, v23
	v_add_f16_e32 v24, v44, v24
	v_fma_f16 v39, v39, 2.0, -v31
	v_fma_f16 v53, v73, 2.0, -v22
	;; [unrolled: 1-line block ×4, first 2 shown]
	v_sub_f16_e32 v22, v13, v22
	v_fma_f16 v31, v31, 2.0, -v23
	v_sub_f16_e32 v35, v9, v35
	v_fma_f16 v44, v44, 2.0, -v24
	v_fma_f16 v52, v52, 2.0, -v13
	;; [unrolled: 1-line block ×5, first 2 shown]
	v_fma_f16 v55, v44, s0, v31
	v_fma_f16 v56, v9, s0, v13
	;; [unrolled: 1-line block ×7, first 2 shown]
	v_lshrrev_b32_e32 v55, 16, v48
	v_sub_f16_e32 v42, v48, v42
	v_sub_f16_e32 v26, v15, v26
	;; [unrolled: 1-line block ×6, first 2 shown]
	v_fma_f16 v15, v15, 2.0, -v26
	v_sub_f16_e32 v25, v14, v25
	v_sub_f16_e32 v47, v40, v47
	v_fma_f16 v16, v16, 2.0, -v27
	v_add_f16_e32 v26, v42, v26
	v_add_f16_e32 v27, v45, v27
	v_fma_f16 v48, v48, 2.0, -v42
	v_fma_f16 v32, v32, 2.0, -v36
	;; [unrolled: 1-line block ×4, first 2 shown]
	v_sub_f16_e32 v36, v17, v36
	v_fma_f16 v42, v42, 2.0, -v26
	v_sub_f16_e32 v47, v25, v47
	v_fma_f16 v45, v45, 2.0, -v27
	v_fma_f16 v24, v24, s0, v56
	v_fma_f16 v55, v55, 2.0, -v17
	v_fma_f16 v14, v14, 2.0, -v25
	;; [unrolled: 1-line block ×4, first 2 shown]
	v_fma_f16 v56, v45, s0, v42
	v_sub_f16_e32 v46, v49, v46
	v_sub_f16_e32 v7, v64, v7
	;; [unrolled: 1-line block ×8, first 2 shown]
	v_fma_f16 v57, v25, s0, v17
	v_fma_f16 v25, v25, s1, v56
	;; [unrolled: 1-line block ×3, first 2 shown]
	v_fma_f16 v33, v33, 2.0, -v37
	v_fma_f16 v19, v19, 2.0, -v29
	;; [unrolled: 1-line block ×4, first 2 shown]
	v_add_f16_e32 v29, v46, v29
	v_sub_f16_e32 v37, v7, v37
	v_add_f16_e32 v30, v21, v30
	v_sub_f16_e32 v51, v28, v51
	v_fma_f16 v45, v45, s0, v57
	v_fma_f16 v57, v47, s1, v36
	;; [unrolled: 1-line block ×3, first 2 shown]
	v_fma_f16 v49, v49, 2.0, -v46
	v_fma_f16 v56, v64, 2.0, -v7
	;; [unrolled: 1-line block ×8, first 2 shown]
	v_fma_f16 v27, v27, s0, v57
	v_fma_f16 v57, v21, s0, v46
	;; [unrolled: 1-line block ×3, first 2 shown]
	v_sub_f16_e32 v53, v39, v53
	v_sub_f16_e32 v11, v52, v11
	;; [unrolled: 1-line block ×12, first 2 shown]
	v_fma_f16 v28, v28, s1, v57
	v_fma_f16 v21, v21, s0, v58
	v_fma_f16 v39, v39, 2.0, -v53
	v_fma_f16 v52, v52, 2.0, -v11
	;; [unrolled: 1-line block ×4, first 2 shown]
	v_add_f16_e32 v12, v53, v12
	v_sub_f16_e32 v34, v11, v34
	v_fma_f16 v48, v48, 2.0, -v32
	v_fma_f16 v55, v55, 2.0, -v15
	;; [unrolled: 1-line block ×6, first 2 shown]
	v_add_f16_e32 v16, v32, v16
	v_sub_f16_e32 v40, v15, v40
	v_fma_f16 v43, v43, 2.0, -v50
	v_fma_f16 v18, v18, 2.0, -v20
	;; [unrolled: 1-line block ×4, first 2 shown]
	v_add_f16_e32 v20, v33, v20
	v_sub_f16_e32 v50, v19, v50
	v_fma_f16 v57, v30, s1, v29
	v_fma_f16 v58, v51, s1, v37
	v_sub_f16_e32 v54, v39, v54
	v_sub_f16_e32 v10, v52, v10
	v_fma_f16 v53, v53, 2.0, -v12
	v_fma_f16 v11, v11, 2.0, -v34
	;; [unrolled: 1-line block ×4, first 2 shown]
	v_sub_f16_e32 v38, v48, v38
	v_sub_f16_e32 v14, v55, v14
	v_fma_f16 v32, v32, 2.0, -v16
	v_fma_f16 v15, v15, 2.0, -v40
	v_fma_f16 v49, v49, 2.0, -v33
	v_fma_f16 v56, v56, 2.0, -v19
	v_fma_f16 v33, v33, 2.0, -v20
	v_fma_f16 v19, v19, 2.0, -v50
	v_fma_f16 v51, v51, s1, v57
	v_fma_f16 v30, v30, s0, v58
	v_pack_b32_f16 v17, v42, v17
	v_pack_b32_f16 v7, v46, v7
	v_fma_f16 v52, v52, 2.0, -v10
	v_fma_f16 v55, v55, 2.0, -v14
	;; [unrolled: 1-line block ×4, first 2 shown]
	v_sub_f16_e32 v43, v49, v43
	v_sub_f16_e32 v18, v56, v18
	v_fma_f16 v29, v29, 2.0, -v51
	v_fma_f16 v37, v37, 2.0, -v30
	v_pack_b32_f16 v11, v53, v11
	v_pack_b32_f16 v22, v23, v22
	;; [unrolled: 1-line block ×5, first 2 shown]
	ds_write2_b32 v4, v17, v7 offset0:68 offset1:85
	v_pack_b32_f16 v7, v33, v19
	v_fma_f16 v39, v39, 2.0, -v54
	v_fma_f16 v31, v31, 2.0, -v9
	;; [unrolled: 1-line block ×6, first 2 shown]
	v_pack_b32_f16 v12, v12, v34
	ds_write2_b32 v4, v11, v15 offset0:102 offset1:119
	v_pack_b32_f16 v11, v26, v36
	ds_write2_b32 v4, v10, v14 offset0:204 offset1:221
	;; [unrolled: 2-line block ×3, first 2 shown]
	v_pack_b32_f16 v7, v29, v37
	v_pack_b32_f16 v39, v39, v52
	;; [unrolled: 1-line block ×6, first 2 shown]
	ds_write2_b32 v41, v12, v14 offset0:50 offset1:67
	v_pack_b32_f16 v14, v49, v56
	ds_write2_b32 v4, v11, v7 offset0:170 offset1:187
	v_pack_b32_f16 v7, v43, v18
	ds_write2_b32 v4, v39, v24 offset1:17
	v_pack_b32_f16 v10, v25, v45
	ds_write2_b32 v4, v14, v13 offset0:34 offset1:51
	ds_write2_b32 v4, v7, v9 offset0:238 offset1:255
	v_pack_b32_f16 v4, v28, v21
	ds_write2_b32 v41, v10, v4 offset0:16 offset1:33
	v_pack_b32_f16 v4, v20, v50
	v_pack_b32_f16 v12, v47, v27
	ds_write2_b32 v41, v4, v23 offset0:84 offset1:101
	v_pack_b32_f16 v4, v51, v30
	ds_write2_b32 v41, v12, v4 offset0:118 offset1:135
	s_waitcnt lgkmcnt(0)
	; wave barrier
	s_waitcnt lgkmcnt(0)
	s_and_saveexec_b64 s[0:1], vcc
	s_cbranch_execz .LBB0_22
; %bb.21:
	v_mul_lo_u32 v4, s3, v5
	v_mul_lo_u32 v7, s2, v6
	v_mad_u64_u32 v[5:6], s[0:1], s2, v5, 0
	v_lshl_add_u32 v11, v3, 2, v0
	v_mov_b32_e32 v0, s11
	v_add3_u32 v6, v6, v7, v4
	v_lshlrev_b64 v[5:6], 2, v[5:6]
	v_mov_b32_e32 v4, v8
	v_add_co_u32_e32 v5, vcc, s10, v5
	v_addc_co_u32_e32 v6, vcc, v0, v6, vcc
	v_lshlrev_b64 v[0:1], 2, v[1:2]
	ds_read2_b32 v[9:10], v11 offset1:17
	v_add_co_u32_e32 v12, vcc, v5, v0
	v_addc_co_u32_e32 v6, vcc, v6, v1, vcc
	v_lshlrev_b64 v[0:1], 2, v[3:4]
	v_add_u32_e32 v7, 17, v3
	v_add_co_u32_e32 v0, vcc, v12, v0
	v_addc_co_u32_e32 v1, vcc, v6, v1, vcc
	s_waitcnt lgkmcnt(0)
	global_store_dword v[0:1], v9, off
	v_lshlrev_b64 v[0:1], 2, v[7:8]
	v_add_u32_e32 v7, 34, v3
	v_add_co_u32_e32 v0, vcc, v12, v0
	v_addc_co_u32_e32 v1, vcc, v6, v1, vcc
	global_store_dword v[0:1], v10, off
	ds_read2_b32 v[0:1], v11 offset0:34 offset1:51
	v_lshlrev_b64 v[4:5], 2, v[7:8]
	v_add_u32_e32 v7, 51, v3
	v_add_co_u32_e32 v4, vcc, v12, v4
	v_addc_co_u32_e32 v5, vcc, v6, v5, vcc
	s_waitcnt lgkmcnt(0)
	global_store_dword v[4:5], v0, off
	v_lshlrev_b64 v[4:5], 2, v[7:8]
	v_add_u32_e32 v7, 0x44, v3
	v_add_co_u32_e32 v4, vcc, v12, v4
	v_addc_co_u32_e32 v5, vcc, v6, v5, vcc
	global_store_dword v[4:5], v1, off
	ds_read2_b32 v[0:1], v11 offset0:68 offset1:85
	;; [unrolled: 12-line block ×7, first 2 shown]
	v_lshlrev_b64 v[4:5], 2, v[7:8]
	v_add_u32_e32 v7, 0xff, v3
	v_add_co_u32_e32 v4, vcc, v12, v4
	v_addc_co_u32_e32 v5, vcc, v6, v5, vcc
	s_waitcnt lgkmcnt(0)
	global_store_dword v[4:5], v0, off
	v_lshlrev_b64 v[4:5], 2, v[7:8]
	v_add_u32_e32 v2, 0x400, v11
	v_add_co_u32_e32 v4, vcc, v12, v4
	v_addc_co_u32_e32 v5, vcc, v6, v5, vcc
	global_store_dword v[4:5], v1, off
	v_add_u32_e32 v7, 0x110, v3
	ds_read2_b32 v[0:1], v2 offset0:16 offset1:33
	v_lshlrev_b64 v[4:5], 2, v[7:8]
	v_add_u32_e32 v7, 0x121, v3
	v_add_co_u32_e32 v4, vcc, v12, v4
	v_addc_co_u32_e32 v5, vcc, v6, v5, vcc
	s_waitcnt lgkmcnt(0)
	global_store_dword v[4:5], v0, off
	v_lshlrev_b64 v[4:5], 2, v[7:8]
	v_add_u32_e32 v7, 0x132, v3
	v_add_co_u32_e32 v4, vcc, v12, v4
	v_addc_co_u32_e32 v5, vcc, v6, v5, vcc
	global_store_dword v[4:5], v1, off
	ds_read2_b32 v[0:1], v2 offset0:50 offset1:67
	v_lshlrev_b64 v[4:5], 2, v[7:8]
	v_add_u32_e32 v7, 0x143, v3
	v_add_co_u32_e32 v4, vcc, v12, v4
	v_addc_co_u32_e32 v5, vcc, v6, v5, vcc
	s_waitcnt lgkmcnt(0)
	global_store_dword v[4:5], v0, off
	v_lshlrev_b64 v[4:5], 2, v[7:8]
	v_add_u32_e32 v7, 0x154, v3
	v_add_co_u32_e32 v4, vcc, v12, v4
	v_addc_co_u32_e32 v5, vcc, v6, v5, vcc
	global_store_dword v[4:5], v1, off
	;; [unrolled: 12-line block ×3, first 2 shown]
	v_lshlrev_b64 v[4:5], 2, v[7:8]
	ds_read2_b32 v[0:1], v2 offset0:118 offset1:135
	v_add_u32_e32 v7, 0x187, v3
	v_add_co_u32_e32 v4, vcc, v12, v4
	v_lshlrev_b64 v[2:3], 2, v[7:8]
	v_addc_co_u32_e32 v5, vcc, v6, v5, vcc
	v_add_co_u32_e32 v2, vcc, v12, v2
	v_addc_co_u32_e32 v3, vcc, v6, v3, vcc
	s_waitcnt lgkmcnt(0)
	global_store_dword v[4:5], v0, off
	global_store_dword v[2:3], v1, off
.LBB0_22:
	s_endpgm
	.section	.rodata,"a",@progbits
	.p2align	6, 0x0
	.amdhsa_kernel fft_rtc_back_len408_factors_17_3_8_wgs_51_tpt_17_halfLds_half_op_CI_CI_unitstride_sbrr_C2R_dirReg
		.amdhsa_group_segment_fixed_size 0
		.amdhsa_private_segment_fixed_size 0
		.amdhsa_kernarg_size 104
		.amdhsa_user_sgpr_count 6
		.amdhsa_user_sgpr_private_segment_buffer 1
		.amdhsa_user_sgpr_dispatch_ptr 0
		.amdhsa_user_sgpr_queue_ptr 0
		.amdhsa_user_sgpr_kernarg_segment_ptr 1
		.amdhsa_user_sgpr_dispatch_id 0
		.amdhsa_user_sgpr_flat_scratch_init 0
		.amdhsa_user_sgpr_private_segment_size 0
		.amdhsa_uses_dynamic_stack 0
		.amdhsa_system_sgpr_private_segment_wavefront_offset 0
		.amdhsa_system_sgpr_workgroup_id_x 1
		.amdhsa_system_sgpr_workgroup_id_y 0
		.amdhsa_system_sgpr_workgroup_id_z 0
		.amdhsa_system_sgpr_workgroup_info 0
		.amdhsa_system_vgpr_workitem_id 0
		.amdhsa_next_free_vgpr 154
		.amdhsa_next_free_sgpr 36
		.amdhsa_reserve_vcc 1
		.amdhsa_reserve_flat_scratch 0
		.amdhsa_float_round_mode_32 0
		.amdhsa_float_round_mode_16_64 0
		.amdhsa_float_denorm_mode_32 3
		.amdhsa_float_denorm_mode_16_64 3
		.amdhsa_dx10_clamp 1
		.amdhsa_ieee_mode 1
		.amdhsa_fp16_overflow 0
		.amdhsa_exception_fp_ieee_invalid_op 0
		.amdhsa_exception_fp_denorm_src 0
		.amdhsa_exception_fp_ieee_div_zero 0
		.amdhsa_exception_fp_ieee_overflow 0
		.amdhsa_exception_fp_ieee_underflow 0
		.amdhsa_exception_fp_ieee_inexact 0
		.amdhsa_exception_int_div_zero 0
	.end_amdhsa_kernel
	.text
.Lfunc_end0:
	.size	fft_rtc_back_len408_factors_17_3_8_wgs_51_tpt_17_halfLds_half_op_CI_CI_unitstride_sbrr_C2R_dirReg, .Lfunc_end0-fft_rtc_back_len408_factors_17_3_8_wgs_51_tpt_17_halfLds_half_op_CI_CI_unitstride_sbrr_C2R_dirReg
                                        ; -- End function
	.section	.AMDGPU.csdata,"",@progbits
; Kernel info:
; codeLenInByte = 18692
; NumSgprs: 40
; NumVgprs: 154
; ScratchSize: 0
; MemoryBound: 0
; FloatMode: 240
; IeeeMode: 1
; LDSByteSize: 0 bytes/workgroup (compile time only)
; SGPRBlocks: 4
; VGPRBlocks: 38
; NumSGPRsForWavesPerEU: 40
; NumVGPRsForWavesPerEU: 154
; Occupancy: 1
; WaveLimiterHint : 1
; COMPUTE_PGM_RSRC2:SCRATCH_EN: 0
; COMPUTE_PGM_RSRC2:USER_SGPR: 6
; COMPUTE_PGM_RSRC2:TRAP_HANDLER: 0
; COMPUTE_PGM_RSRC2:TGID_X_EN: 1
; COMPUTE_PGM_RSRC2:TGID_Y_EN: 0
; COMPUTE_PGM_RSRC2:TGID_Z_EN: 0
; COMPUTE_PGM_RSRC2:TIDIG_COMP_CNT: 0
	.type	__hip_cuid_82f2b25770ce8e7a,@object ; @__hip_cuid_82f2b25770ce8e7a
	.section	.bss,"aw",@nobits
	.globl	__hip_cuid_82f2b25770ce8e7a
__hip_cuid_82f2b25770ce8e7a:
	.byte	0                               ; 0x0
	.size	__hip_cuid_82f2b25770ce8e7a, 1

	.ident	"AMD clang version 19.0.0git (https://github.com/RadeonOpenCompute/llvm-project roc-6.4.0 25133 c7fe45cf4b819c5991fe208aaa96edf142730f1d)"
	.section	".note.GNU-stack","",@progbits
	.addrsig
	.addrsig_sym __hip_cuid_82f2b25770ce8e7a
	.amdgpu_metadata
---
amdhsa.kernels:
  - .args:
      - .actual_access:  read_only
        .address_space:  global
        .offset:         0
        .size:           8
        .value_kind:     global_buffer
      - .offset:         8
        .size:           8
        .value_kind:     by_value
      - .actual_access:  read_only
        .address_space:  global
        .offset:         16
        .size:           8
        .value_kind:     global_buffer
      - .actual_access:  read_only
        .address_space:  global
        .offset:         24
        .size:           8
        .value_kind:     global_buffer
      - .actual_access:  read_only
        .address_space:  global
        .offset:         32
        .size:           8
        .value_kind:     global_buffer
      - .offset:         40
        .size:           8
        .value_kind:     by_value
      - .actual_access:  read_only
        .address_space:  global
        .offset:         48
        .size:           8
        .value_kind:     global_buffer
      - .actual_access:  read_only
        .address_space:  global
        .offset:         56
        .size:           8
        .value_kind:     global_buffer
      - .offset:         64
        .size:           4
        .value_kind:     by_value
      - .actual_access:  read_only
        .address_space:  global
        .offset:         72
        .size:           8
        .value_kind:     global_buffer
      - .actual_access:  read_only
        .address_space:  global
        .offset:         80
        .size:           8
        .value_kind:     global_buffer
      - .actual_access:  read_only
        .address_space:  global
        .offset:         88
        .size:           8
        .value_kind:     global_buffer
      - .actual_access:  write_only
        .address_space:  global
        .offset:         96
        .size:           8
        .value_kind:     global_buffer
    .group_segment_fixed_size: 0
    .kernarg_segment_align: 8
    .kernarg_segment_size: 104
    .language:       OpenCL C
    .language_version:
      - 2
      - 0
    .max_flat_workgroup_size: 51
    .name:           fft_rtc_back_len408_factors_17_3_8_wgs_51_tpt_17_halfLds_half_op_CI_CI_unitstride_sbrr_C2R_dirReg
    .private_segment_fixed_size: 0
    .sgpr_count:     40
    .sgpr_spill_count: 0
    .symbol:         fft_rtc_back_len408_factors_17_3_8_wgs_51_tpt_17_halfLds_half_op_CI_CI_unitstride_sbrr_C2R_dirReg.kd
    .uniform_work_group_size: 1
    .uses_dynamic_stack: false
    .vgpr_count:     154
    .vgpr_spill_count: 0
    .wavefront_size: 64
amdhsa.target:   amdgcn-amd-amdhsa--gfx906
amdhsa.version:
  - 1
  - 2
...

	.end_amdgpu_metadata
